;; amdgpu-corpus repo=ROCm/rocFFT kind=compiled arch=gfx906 opt=O3
	.text
	.amdgcn_target "amdgcn-amd-amdhsa--gfx906"
	.amdhsa_code_object_version 6
	.protected	bluestein_single_back_len1904_dim1_sp_op_CI_CI ; -- Begin function bluestein_single_back_len1904_dim1_sp_op_CI_CI
	.globl	bluestein_single_back_len1904_dim1_sp_op_CI_CI
	.p2align	8
	.type	bluestein_single_back_len1904_dim1_sp_op_CI_CI,@function
bluestein_single_back_len1904_dim1_sp_op_CI_CI: ; @bluestein_single_back_len1904_dim1_sp_op_CI_CI
; %bb.0:
	s_mov_b64 s[22:23], s[2:3]
	s_mov_b64 s[20:21], s[0:1]
	s_load_dwordx4 s[0:3], s[4:5], 0x28
	v_mul_u32_u24_e32 v1, 0x227, v0
	v_add_u32_sdwa v212, s6, v1 dst_sel:DWORD dst_unused:UNUSED_PAD src0_sel:DWORD src1_sel:WORD_1
	v_mov_b32_e32 v213, 0
	s_add_u32 s20, s20, s7
	s_waitcnt lgkmcnt(0)
	v_cmp_gt_u64_e32 vcc, s[0:1], v[212:213]
	s_addc_u32 s21, s21, 0
	s_and_saveexec_b64 s[0:1], vcc
	s_cbranch_execz .LBB0_23
; %bb.1:
	s_load_dwordx2 s[12:13], s[4:5], 0x0
	s_load_dwordx2 s[14:15], s[4:5], 0x38
	s_movk_i32 s0, 0x77
	v_mul_lo_u16_sdwa v1, v1, s0 dst_sel:DWORD dst_unused:UNUSED_PAD src0_sel:WORD_1 src1_sel:DWORD
	v_sub_u16_e32 v147, v0, v1
	s_movk_i32 s0, 0x70
	v_cmp_gt_u16_e64 s[0:1], s0, v147
	v_lshlrev_b32_e32 v213, 3, v147
	s_and_saveexec_b64 s[6:7], s[0:1]
	s_cbranch_execz .LBB0_3
; %bb.2:
	s_load_dwordx2 s[8:9], s[4:5], 0x18
	v_or_b32_e32 v33, 0x380, v147
	v_or_b32_e32 v73, 0x700, v147
	s_waitcnt lgkmcnt(0)
	s_load_dwordx4 s[8:11], s[8:9], 0x0
	s_waitcnt lgkmcnt(0)
	v_mad_u64_u32 v[0:1], s[16:17], s10, v212, 0
	v_mad_u64_u32 v[2:3], s[16:17], s8, v147, 0
	;; [unrolled: 1-line block ×4, first 2 shown]
	v_mov_b32_e32 v1, v4
	v_lshlrev_b64 v[0:1], 3, v[0:1]
	v_mov_b32_e32 v3, v5
	v_mov_b32_e32 v6, s3
	v_lshlrev_b64 v[2:3], 3, v[2:3]
	v_add_co_u32_e32 v71, vcc, s2, v0
	v_addc_co_u32_e32 v72, vcc, v6, v1, vcc
	v_add_co_u32_e32 v0, vcc, v71, v2
	v_addc_co_u32_e32 v1, vcc, v72, v3, vcc
	v_mov_b32_e32 v2, s13
	v_add_co_u32_e32 v61, vcc, s12, v213
	s_mul_i32 s2, s9, 0x380
	s_mul_hi_u32 s3, s8, 0x380
	v_addc_co_u32_e32 v62, vcc, 0, v2, vcc
	s_add_i32 s3, s3, s2
	s_mul_i32 s2, s8, 0x380
	v_mov_b32_e32 v3, s3
	v_add_co_u32_e32 v2, vcc, s2, v0
	v_addc_co_u32_e32 v3, vcc, v1, v3, vcc
	v_mov_b32_e32 v5, s3
	v_add_co_u32_e32 v4, vcc, s2, v2
	v_addc_co_u32_e32 v5, vcc, v3, v5, vcc
	;; [unrolled: 3-line block ×3, first 2 shown]
	global_load_dwordx2 v[8:9], v[0:1], off
	global_load_dwordx2 v[10:11], v[2:3], off
	;; [unrolled: 1-line block ×4, first 2 shown]
	global_load_dwordx2 v[16:17], v213, s[12:13]
	global_load_dwordx2 v[18:19], v213, s[12:13] offset:896
	global_load_dwordx2 v[20:21], v213, s[12:13] offset:1792
	;; [unrolled: 1-line block ×3, first 2 shown]
	v_mov_b32_e32 v1, s3
	v_add_co_u32_e32 v0, vcc, s2, v6
	v_addc_co_u32_e32 v1, vcc, v7, v1, vcc
	global_load_dwordx2 v[2:3], v[0:1], off
	global_load_dwordx2 v[4:5], v213, s[12:13] offset:3584
	v_mov_b32_e32 v6, s3
	v_add_co_u32_e32 v0, vcc, s2, v0
	v_addc_co_u32_e32 v1, vcc, v1, v6, vcc
	s_movk_i32 s10, 0x1000
	v_add_co_u32_e32 v24, vcc, s10, v61
	v_addc_co_u32_e32 v25, vcc, 0, v62, vcc
	global_load_dwordx2 v[6:7], v[0:1], off
	v_mov_b32_e32 v28, s3
	v_add_co_u32_e32 v0, vcc, s2, v0
	v_addc_co_u32_e32 v1, vcc, v1, v28, vcc
	global_load_dwordx2 v[28:29], v[0:1], off
	v_mad_u64_u32 v[26:27], s[10:11], s8, v33, 0
	v_mov_b32_e32 v32, s3
	v_add_co_u32_e32 v0, vcc, s2, v0
	v_addc_co_u32_e32 v1, vcc, v1, v32, vcc
	s_waitcnt vmcnt(0)
	v_mad_u64_u32 v[30:31], s[10:11], s9, v33, v[27:28]
	global_load_dwordx2 v[31:32], v[0:1], off
	v_mov_b32_e32 v27, v30
	v_mov_b32_e32 v30, 0x700
	v_mad_u64_u32 v[0:1], s[10:11], s8, v30, v[0:1]
	v_lshlrev_b64 v[26:27], 3, v[26:27]
	s_mul_i32 s10, s9, 0x700
	v_add_co_u32_e32 v26, vcc, v71, v26
	v_addc_co_u32_e32 v27, vcc, v72, v27, vcc
	v_lshlrev_b32_e32 v30, 3, v33
	v_add_u32_e32 v1, s10, v1
	global_load_dwordx2 v[26:27], v[26:27], off
	s_movk_i32 s10, 0x2000
	global_load_dwordx2 v[33:34], v30, s[12:13]
	global_load_dwordx2 v[35:36], v[0:1], off
	global_load_dwordx2 v[37:38], v[24:25], off offset:384
	global_load_dwordx2 v[39:40], v[24:25], off offset:1280
	;; [unrolled: 1-line block ×4, first 2 shown]
	v_mov_b32_e32 v24, s3
	v_add_co_u32_e32 v0, vcc, s2, v0
	v_addc_co_u32_e32 v1, vcc, v1, v24, vcc
	v_add_co_u32_e32 v45, vcc, s10, v61
	v_addc_co_u32_e32 v46, vcc, 0, v62, vcc
	global_load_dwordx2 v[24:25], v[0:1], off
	v_mov_b32_e32 v30, s3
	v_add_co_u32_e32 v0, vcc, s2, v0
	v_addc_co_u32_e32 v1, vcc, v1, v30, vcc
	global_load_dwordx2 v[47:48], v[0:1], off
	v_add_co_u32_e32 v0, vcc, s2, v0
	v_addc_co_u32_e32 v1, vcc, v1, v30, vcc
	global_load_dwordx2 v[49:50], v[0:1], off
	;; [unrolled: 3-line block ×3, first 2 shown]
	global_load_dwordx2 v[53:54], v[45:46], off offset:768
	global_load_dwordx2 v[55:56], v[45:46], off offset:1664
	;; [unrolled: 1-line block ×4, first 2 shown]
	v_add_co_u32_e32 v0, vcc, s2, v0
	v_addc_co_u32_e32 v1, vcc, v1, v30, vcc
	s_movk_i32 s10, 0x3000
	v_add_co_u32_e32 v61, vcc, s10, v61
	v_mad_u64_u32 v[63:64], s[10:11], s8, v73, 0
	v_addc_co_u32_e32 v62, vcc, 0, v62, vcc
	global_load_dwordx2 v[45:46], v[0:1], off
	v_add_co_u32_e32 v0, vcc, s2, v0
	v_addc_co_u32_e32 v1, vcc, v1, v30, vcc
	v_mov_b32_e32 v30, v64
	s_waitcnt vmcnt(16)
	v_mad_u64_u32 v[64:65], s[2:3], s9, v73, v[30:31]
	global_load_dwordx2 v[65:66], v[0:1], off
	global_load_dwordx2 v[67:68], v[61:62], off offset:256
	global_load_dwordx2 v[69:70], v[61:62], off offset:1152
	v_lshlrev_b32_e32 v30, 3, v73
	v_lshlrev_b64 v[0:1], 3, v[63:64]
	global_load_dwordx2 v[61:62], v30, s[12:13]
	v_add_co_u32_e32 v0, vcc, v71, v0
	v_addc_co_u32_e32 v1, vcc, v72, v1, vcc
	global_load_dwordx2 v[0:1], v[0:1], off
	v_mul_f32_e32 v63, v9, v17
	v_fmac_f32_e32 v63, v8, v16
	v_mul_f32_e32 v8, v8, v17
	v_fma_f32 v64, v9, v16, -v8
	v_mul_f32_e32 v8, v11, v19
	v_mul_f32_e32 v9, v10, v19
	v_fmac_f32_e32 v8, v10, v18
	v_fma_f32 v9, v11, v18, -v9
	ds_write2_b64 v213, v[63:64], v[8:9] offset1:112
	v_mul_f32_e32 v8, v13, v21
	v_mul_f32_e32 v9, v12, v21
	v_mul_f32_e32 v10, v15, v23
	v_mul_f32_e32 v11, v14, v23
	v_fmac_f32_e32 v8, v12, v20
	v_fma_f32 v9, v13, v20, -v9
	v_fmac_f32_e32 v10, v14, v22
	v_fma_f32 v11, v15, v22, -v11
	v_add_u32_e32 v12, 0x400, v213
	ds_write2_b64 v12, v[8:9], v[10:11] offset0:96 offset1:208
	v_mul_f32_e32 v8, v3, v5
	v_fmac_f32_e32 v8, v2, v4
	v_mul_f32_e32 v2, v2, v5
	v_fma_f32 v9, v3, v4, -v2
	s_waitcnt vmcnt(17)
	v_mul_f32_e32 v2, v7, v38
	v_mul_f32_e32 v3, v6, v38
	v_fmac_f32_e32 v2, v6, v37
	v_fma_f32 v3, v7, v37, -v3
	v_add_u32_e32 v4, 0xc00, v213
	ds_write2_b64 v4, v[8:9], v[2:3] offset0:64 offset1:176
	s_waitcnt vmcnt(16)
	v_mul_f32_e32 v2, v29, v40
	v_mul_f32_e32 v3, v28, v40
	s_waitcnt vmcnt(15)
	v_mul_f32_e32 v4, v32, v42
	v_mul_f32_e32 v5, v31, v42
	v_fmac_f32_e32 v2, v28, v39
	v_fma_f32 v3, v29, v39, -v3
	v_fmac_f32_e32 v4, v31, v41
	v_fma_f32 v5, v32, v41, -v5
	v_add_u32_e32 v6, 0x1400, v213
	ds_write2_b64 v6, v[2:3], v[4:5] offset0:32 offset1:144
	v_mul_f32_e32 v2, v27, v34
	v_mul_f32_e32 v3, v26, v34
	s_waitcnt vmcnt(14)
	v_mul_f32_e32 v4, v36, v44
	v_mul_f32_e32 v5, v35, v44
	v_fmac_f32_e32 v2, v26, v33
	v_fma_f32 v3, v27, v33, -v3
	v_fmac_f32_e32 v4, v35, v43
	v_fma_f32 v5, v36, v43, -v5
	v_add_u32_e32 v6, 0x1800, v213
	ds_write2_b64 v6, v[2:3], v[4:5] offset0:128 offset1:240
	s_waitcnt vmcnt(9)
	v_mul_f32_e32 v2, v25, v54
	v_mul_f32_e32 v3, v24, v54
	s_waitcnt vmcnt(8)
	v_mul_f32_e32 v4, v48, v56
	v_mul_f32_e32 v5, v47, v56
	v_fmac_f32_e32 v2, v24, v53
	v_fma_f32 v3, v25, v53, -v3
	v_fmac_f32_e32 v4, v47, v55
	v_fma_f32 v5, v48, v55, -v5
	v_add_u32_e32 v6, 0x2000, v213
	ds_write2_b64 v6, v[2:3], v[4:5] offset0:96 offset1:208
	s_waitcnt vmcnt(7)
	v_mul_f32_e32 v2, v50, v58
	v_mul_f32_e32 v3, v49, v58
	s_waitcnt vmcnt(6)
	v_mul_f32_e32 v4, v52, v60
	v_mul_f32_e32 v5, v51, v60
	v_fmac_f32_e32 v2, v49, v57
	v_fma_f32 v3, v50, v57, -v3
	v_fmac_f32_e32 v4, v51, v59
	v_fma_f32 v5, v52, v59, -v5
	v_add_u32_e32 v6, 0x2800, v213
	ds_write2_b64 v6, v[2:3], v[4:5] offset0:64 offset1:176
	v_add_u32_e32 v6, 0x3000, v213
	s_waitcnt vmcnt(3)
	v_mul_f32_e32 v2, v46, v68
	v_mul_f32_e32 v3, v45, v68
	s_waitcnt vmcnt(2)
	v_mul_f32_e32 v4, v66, v70
	v_mul_f32_e32 v5, v65, v70
	v_fmac_f32_e32 v2, v45, v67
	v_fma_f32 v3, v46, v67, -v3
	v_fmac_f32_e32 v4, v65, v69
	v_fma_f32 v5, v66, v69, -v5
	ds_write2_b64 v6, v[2:3], v[4:5] offset0:32 offset1:144
	s_waitcnt vmcnt(0)
	v_mul_f32_e32 v2, v1, v62
	v_fmac_f32_e32 v2, v0, v61
	v_mul_f32_e32 v0, v0, v62
	v_fma_f32 v3, v1, v61, -v0
	ds_write_b64 v213, v[2:3] offset:14336
.LBB0_3:
	s_or_b64 exec, exec, s[6:7]
	s_load_dwordx2 s[2:3], s[4:5], 0x20
	s_load_dwordx2 s[8:9], s[4:5], 0x8
	v_mov_b32_e32 v0, 0
	v_mov_b32_e32 v1, 0
	s_waitcnt lgkmcnt(0)
	s_barrier
	s_waitcnt lgkmcnt(0)
                                        ; implicit-def: $vgpr32
                                        ; implicit-def: $vgpr30
                                        ; implicit-def: $vgpr26
                                        ; implicit-def: $vgpr22
                                        ; implicit-def: $vgpr18
                                        ; implicit-def: $vgpr14
                                        ; implicit-def: $vgpr10
                                        ; implicit-def: $vgpr6
	s_and_saveexec_b64 s[4:5], s[0:1]
	s_cbranch_execz .LBB0_5
; %bb.4:
	v_add_u32_e32 v4, 0x400, v213
	v_add_u32_e32 v8, 0xc00, v213
	;; [unrolled: 1-line block ×7, first 2 shown]
	ds_read2_b64 v[0:3], v213 offset1:112
	ds_read2_b64 v[4:7], v4 offset0:96 offset1:208
	ds_read2_b64 v[8:11], v8 offset0:64 offset1:176
	;; [unrolled: 1-line block ×7, first 2 shown]
	ds_read_b64 v[32:33], v213 offset:14336
.LBB0_5:
	s_or_b64 exec, exec, s[4:5]
	s_waitcnt lgkmcnt(0)
	v_sub_f32_e32 v119, v3, v33
	v_mul_f32_e32 v44, 0xbeb8f4ab, v119
	v_sub_f32_e32 v120, v5, v31
	v_add_f32_e32 v48, v32, v2
	v_sub_f32_e32 v67, v2, v32
	v_mov_b32_e32 v34, v44
	v_mul_f32_e32 v45, 0xbf2c7751, v120
	v_add_f32_e32 v60, v33, v3
	s_mov_b32 s6, 0x3f6eb680
	v_mul_f32_e32 v46, 0xbeb8f4ab, v67
	v_fmac_f32_e32 v34, 0x3f6eb680, v48
	v_add_f32_e32 v51, v30, v4
	v_sub_f32_e32 v71, v4, v30
	v_mov_b32_e32 v36, v45
	v_add_f32_e32 v34, v34, v0
	v_fma_f32 v35, v60, s6, -v46
	v_add_f32_e32 v63, v31, v5
	s_mov_b32 s7, 0x3f3d2fb0
	v_mul_f32_e32 v49, 0xbf2c7751, v71
	v_fmac_f32_e32 v36, 0x3f3d2fb0, v51
	v_sub_f32_e32 v121, v7, v29
	v_add_f32_e32 v35, v35, v1
	v_add_f32_e32 v34, v36, v34
	v_fma_f32 v36, v63, s7, -v49
	v_mul_f32_e32 v47, 0xbf65296c, v121
	v_add_f32_e32 v35, v36, v35
	v_add_f32_e32 v54, v28, v6
	v_sub_f32_e32 v72, v6, v28
	v_mov_b32_e32 v36, v47
	v_add_f32_e32 v70, v29, v7
	s_mov_b32 s10, 0x3ee437d1
	v_mul_f32_e32 v52, 0xbf65296c, v72
	v_fmac_f32_e32 v36, 0x3ee437d1, v54
	v_sub_f32_e32 v122, v9, v27
	v_add_f32_e32 v34, v36, v34
	v_fma_f32 v36, v70, s10, -v52
	v_mul_f32_e32 v50, 0xbf7ee86f, v122
	v_add_f32_e32 v35, v36, v35
	v_add_f32_e32 v57, v26, v8
	v_sub_f32_e32 v76, v8, v26
	v_mov_b32_e32 v36, v50
	v_add_f32_e32 v73, v27, v9
	s_mov_b32 s11, 0x3dbcf732
	v_mul_f32_e32 v55, 0xbf7ee86f, v76
	v_fmac_f32_e32 v36, 0x3dbcf732, v57
	v_sub_f32_e32 v123, v11, v25
	;; [unrolled: 12-line block ×5, first 2 shown]
	v_add_f32_e32 v34, v36, v34
	v_fma_f32 v36, v83, s18, -v69
	v_mul_f32_e32 v66, 0xbe3c28d5, v126
	v_add_f32_e32 v35, v36, v35
	v_add_f32_e32 v79, v18, v16
	v_sub_f32_e32 v85, v16, v18
	v_mov_b32_e32 v36, v66
	v_add_f32_e32 v86, v19, v17
	s_mov_b32 s19, 0xbf7ba420
	v_mul_f32_e32 v75, 0xbe3c28d5, v85
	v_fmac_f32_e32 v36, 0xbf7ba420, v79
	v_add_f32_e32 v64, v36, v34
	v_fma_f32 v34, v86, s19, -v75
	v_add_f32_e32 v65, v34, v35
	s_barrier
	s_and_saveexec_b64 s[4:5], s[0:1]
	s_cbranch_execz .LBB0_7
; %bb.6:
	v_mul_f32_e32 v97, 0x3f3d2fb0, v60
	v_mov_b32_e32 v34, v97
	v_mul_f32_e32 v99, 0x3dbcf732, v63
	v_fmac_f32_e32 v34, 0x3f2c7751, v67
	v_mov_b32_e32 v35, v99
	v_add_f32_e32 v34, v34, v1
	v_fmac_f32_e32 v35, 0x3f7ee86f, v71
	v_mul_f32_e32 v95, 0xbf1a4643, v70
	v_add_f32_e32 v34, v35, v34
	v_mov_b32_e32 v35, v95
	v_fmac_f32_e32 v35, 0x3f4c4adb, v72
	v_mul_f32_e32 v92, 0xbf7ba420, v73
	v_add_f32_e32 v34, v35, v34
	v_mov_b32_e32 v35, v92
	v_fmac_f32_e32 v35, 0x3e3c28d5, v76
	v_mul_f32_e32 v90, 0xbf59a7d5, v78
	v_add_f32_e32 v34, v35, v34
	v_mov_b32_e32 v35, v90
	v_fmac_f32_e32 v35, 0xbf06c442, v77
	v_mul_f32_e32 v87, 0xbe8c1d8e, v81
	v_add_f32_e32 v34, v35, v34
	v_mov_b32_e32 v35, v87
	v_fmac_f32_e32 v35, 0xbf763a35, v80
	v_mul_f32_e32 v88, 0x3ee437d1, v83
	v_add_f32_e32 v34, v35, v34
	v_mov_b32_e32 v35, v88
	v_fmac_f32_e32 v35, 0xbf65296c, v82
	v_mul_f32_e32 v89, 0x3f6eb680, v86
	v_add_f32_e32 v34, v35, v34
	v_mov_b32_e32 v35, v89
	v_fmac_f32_e32 v35, 0xbeb8f4ab, v85
	v_mul_f32_e32 v91, 0xbf2c7751, v119
	v_add_f32_e32 v35, v35, v34
	v_mov_b32_e32 v34, v91
	v_mul_f32_e32 v93, 0xbf7ee86f, v120
	v_fmac_f32_e32 v34, 0x3f3d2fb0, v48
	v_mov_b32_e32 v36, v93
	v_add_f32_e32 v34, v34, v0
	v_fmac_f32_e32 v36, 0x3dbcf732, v51
	v_mul_f32_e32 v94, 0xbf4c4adb, v121
	v_add_f32_e32 v34, v36, v34
	v_mov_b32_e32 v36, v94
	v_fmac_f32_e32 v36, 0xbf1a4643, v54
	v_mul_f32_e32 v96, 0xbe3c28d5, v122
	v_add_f32_e32 v34, v36, v34
	v_mov_b32_e32 v36, v96
	v_fmac_f32_e32 v36, 0xbf7ba420, v57
	v_mul_f32_e32 v98, 0x3f06c442, v123
	v_add_f32_e32 v34, v36, v34
	v_mov_b32_e32 v36, v98
	v_fmac_f32_e32 v36, 0xbf59a7d5, v61
	v_mul_f32_e32 v100, 0x3f763a35, v124
	v_add_f32_e32 v34, v36, v34
	v_mov_b32_e32 v36, v100
	v_fmac_f32_e32 v36, 0xbe8c1d8e, v68
	v_mul_f32_e32 v101, 0x3f65296c, v125
	v_add_f32_e32 v34, v36, v34
	v_mov_b32_e32 v36, v101
	v_fmac_f32_e32 v36, 0x3ee437d1, v74
	v_mul_f32_e32 v102, 0x3eb8f4ab, v126
	v_add_f32_e32 v34, v36, v34
	v_mov_b32_e32 v36, v102
	v_fmac_f32_e32 v36, 0x3f6eb680, v79
	v_mul_f32_e32 v103, 0x3ee437d1, v60
	v_add_f32_e32 v34, v36, v34
	v_mov_b32_e32 v36, v103
	v_mul_f32_e32 v104, 0xbf1a4643, v63
	v_fmac_f32_e32 v36, 0x3f65296c, v67
	v_mov_b32_e32 v37, v104
	v_add_f32_e32 v36, v36, v1
	v_fmac_f32_e32 v37, 0x3f4c4adb, v71
	v_mul_f32_e32 v105, 0xbf7ba420, v70
	v_add_f32_e32 v36, v37, v36
	v_mov_b32_e32 v37, v105
	v_fmac_f32_e32 v37, 0xbe3c28d5, v72
	v_mul_f32_e32 v106, 0xbe8c1d8e, v73
	v_add_f32_e32 v36, v37, v36
	v_mov_b32_e32 v37, v106
	v_fmac_f32_e32 v37, 0xbf763a35, v76
	v_mul_f32_e32 v107, 0x3f3d2fb0, v78
	v_add_f32_e32 v36, v37, v36
	v_mov_b32_e32 v37, v107
	v_fmac_f32_e32 v37, 0xbf2c7751, v77
	v_mul_f32_e32 v108, 0x3f6eb680, v81
	v_add_f32_e32 v36, v37, v36
	v_mov_b32_e32 v37, v108
	v_fmac_f32_e32 v37, 0x3eb8f4ab, v80
	v_mul_f32_e32 v109, 0x3dbcf732, v83
	v_add_f32_e32 v36, v37, v36
	v_mov_b32_e32 v37, v109
	v_fmac_f32_e32 v37, 0x3f7ee86f, v82
	v_mul_f32_e32 v110, 0xbf65296c, v119
	v_add_f32_e32 v36, v37, v36
	v_mov_b32_e32 v37, v110
	v_mul_f32_e32 v111, 0xbf4c4adb, v120
	v_fmac_f32_e32 v37, 0x3ee437d1, v48
	v_mov_b32_e32 v38, v111
	v_add_f32_e32 v37, v37, v0
	v_fmac_f32_e32 v38, 0xbf1a4643, v51
	v_mul_f32_e32 v112, 0x3e3c28d5, v121
	v_add_f32_e32 v37, v38, v37
	v_mov_b32_e32 v38, v112
	v_fmac_f32_e32 v38, 0xbf7ba420, v54
	v_mul_f32_e32 v113, 0x3f763a35, v122
	v_add_f32_e32 v37, v38, v37
	v_mov_b32_e32 v38, v113
	v_fmac_f32_e32 v38, 0xbe8c1d8e, v57
	v_mul_f32_e32 v115, 0x3f2c7751, v123
	v_add_f32_e32 v37, v38, v37
	v_mov_b32_e32 v38, v115
	v_fmac_f32_e32 v38, 0x3f3d2fb0, v61
	v_mul_f32_e32 v116, 0xbeb8f4ab, v124
	v_add_f32_e32 v37, v38, v37
	v_mov_b32_e32 v38, v116
	v_fmac_f32_e32 v38, 0x3f6eb680, v68
	v_mul_f32_e32 v117, 0xbf7ee86f, v125
	v_add_f32_e32 v37, v38, v37
	v_mov_b32_e32 v38, v117
	v_fmac_f32_e32 v38, 0x3dbcf732, v74
	v_mul_f32_e32 v114, 0xbf59a7d5, v86
	v_add_f32_e32 v38, v38, v37
	v_mov_b32_e32 v37, v114
	v_fmac_f32_e32 v37, 0x3f06c442, v85
	v_mul_f32_e32 v118, 0xbf06c442, v126
	v_add_f32_e32 v37, v37, v36
	v_mov_b32_e32 v36, v118
	v_fmac_f32_e32 v36, 0xbf59a7d5, v79
	v_mul_f32_e32 v131, 0x3dbcf732, v60
	v_add_f32_e32 v36, v36, v38
	v_mov_b32_e32 v38, v131
	v_mul_f32_e32 v132, 0xbf7ba420, v63
	v_fmac_f32_e32 v38, 0x3f7ee86f, v67
	v_mov_b32_e32 v39, v132
	v_add_f32_e32 v38, v38, v1
	v_fmac_f32_e32 v39, 0x3e3c28d5, v71
	v_mul_f32_e32 v133, 0xbe8c1d8e, v70
	v_add_f32_e32 v38, v39, v38
	v_mov_b32_e32 v39, v133
	v_fmac_f32_e32 v39, 0xbf763a35, v72
	v_mul_f32_e32 v134, 0x3f6eb680, v73
	v_add_f32_e32 v38, v39, v38
	v_mov_b32_e32 v39, v134
	v_fmac_f32_e32 v39, 0xbeb8f4ab, v76
	v_mul_f32_e32 v135, 0x3ee437d1, v78
	v_add_f32_e32 v38, v39, v38
	v_mov_b32_e32 v39, v135
	v_fmac_f32_e32 v39, 0x3f65296c, v77
	v_mul_f32_e32 v136, 0xbf59a7d5, v81
	v_add_f32_e32 v38, v39, v38
	v_mov_b32_e32 v39, v136
	v_fmac_f32_e32 v39, 0x3f06c442, v80
	v_mul_f32_e32 v137, 0xbf1a4643, v83
	v_add_f32_e32 v38, v39, v38
	v_mov_b32_e32 v39, v137
	v_fmac_f32_e32 v39, 0xbf4c4adb, v82
	v_mul_f32_e32 v138, 0xbf7ee86f, v119
	v_add_f32_e32 v38, v39, v38
	v_mov_b32_e32 v39, v138
	v_mul_f32_e32 v139, 0xbe3c28d5, v120
	v_fmac_f32_e32 v39, 0x3dbcf732, v48
	v_mov_b32_e32 v40, v139
	v_add_f32_e32 v39, v39, v0
	v_fmac_f32_e32 v40, 0xbf7ba420, v51
	v_mul_f32_e32 v140, 0x3f763a35, v121
	v_add_f32_e32 v39, v40, v39
	v_mov_b32_e32 v40, v140
	v_fmac_f32_e32 v40, 0xbe8c1d8e, v54
	v_mul_f32_e32 v141, 0x3eb8f4ab, v122
	v_add_f32_e32 v39, v40, v39
	v_mov_b32_e32 v40, v141
	v_fmac_f32_e32 v40, 0x3f6eb680, v57
	v_mul_f32_e32 v142, 0xbf65296c, v123
	v_add_f32_e32 v39, v40, v39
	v_mov_b32_e32 v40, v142
	v_fmac_f32_e32 v40, 0x3ee437d1, v61
	v_mul_f32_e32 v143, 0xbf06c442, v124
	v_add_f32_e32 v39, v40, v39
	v_mov_b32_e32 v40, v143
	v_fmac_f32_e32 v40, 0xbf59a7d5, v68
	v_mul_f32_e32 v144, 0x3f4c4adb, v125
	v_add_f32_e32 v39, v40, v39
	v_mov_b32_e32 v40, v144
	v_fmac_f32_e32 v40, 0xbf1a4643, v74
	v_mul_f32_e32 v145, 0x3f3d2fb0, v86
	v_add_f32_e32 v40, v40, v39
	v_mov_b32_e32 v39, v145
	v_fmac_f32_e32 v39, 0xbf2c7751, v85
	v_mul_f32_e32 v146, 0x3f2c7751, v126
	v_add_f32_e32 v39, v39, v38
	v_mov_b32_e32 v38, v146
	v_fmac_f32_e32 v38, 0x3f3d2fb0, v79
	v_mul_f32_e32 v129, 0xbe8c1d8e, v60
	v_add_f32_e32 v38, v38, v40
	v_mov_b32_e32 v40, v129
	v_mul_f32_e32 v130, 0xbf59a7d5, v63
	v_fmac_f32_e32 v40, 0x3f763a35, v67
	v_mov_b32_e32 v41, v130
	v_add_f32_e32 v40, v40, v1
	v_fmac_f32_e32 v41, 0xbf06c442, v71
	v_mul_f32_e32 v149, 0x3f3d2fb0, v70
	v_add_f32_e32 v40, v41, v40
	v_mov_b32_e32 v41, v149
	v_fmac_f32_e32 v41, 0xbf2c7751, v72
	v_mul_f32_e32 v150, 0x3ee437d1, v73
	v_add_f32_e32 v40, v41, v40
	v_mov_b32_e32 v41, v150
	v_fmac_f32_e32 v41, 0x3f65296c, v76
	v_mul_f32_e32 v151, 0xbf7ba420, v78
	v_add_f32_e32 v40, v41, v40
	v_mov_b32_e32 v41, v151
	v_fmac_f32_e32 v41, 0x3e3c28d5, v77
	v_mul_f32_e32 v152, 0x3dbcf732, v81
	v_add_f32_e32 v40, v41, v40
	v_mov_b32_e32 v41, v152
	v_fmac_f32_e32 v41, 0xbf7ee86f, v80
	v_mul_f32_e32 v153, 0x3f6eb680, v83
	v_add_f32_e32 v40, v41, v40
	v_mov_b32_e32 v41, v153
	v_fmac_f32_e32 v41, 0x3eb8f4ab, v82
	v_mul_f32_e32 v154, 0xbf763a35, v119
	v_add_f32_e32 v40, v41, v40
	v_mov_b32_e32 v41, v154
	v_mul_f32_e32 v155, 0x3f06c442, v120
	v_fmac_f32_e32 v41, 0xbe8c1d8e, v48
	v_mov_b32_e32 v42, v155
	v_add_f32_e32 v41, v41, v0
	v_fmac_f32_e32 v42, 0xbf59a7d5, v51
	v_mul_f32_e32 v156, 0x3f2c7751, v121
	v_add_f32_e32 v41, v42, v41
	v_mov_b32_e32 v42, v156
	v_fmac_f32_e32 v42, 0x3f3d2fb0, v54
	v_mul_f32_e32 v157, 0xbf65296c, v122
	v_add_f32_e32 v41, v42, v41
	v_mov_b32_e32 v42, v157
	v_fmac_f32_e32 v42, 0x3ee437d1, v57
	v_mul_f32_e32 v158, 0xbe3c28d5, v123
	v_add_f32_e32 v41, v42, v41
	v_mov_b32_e32 v42, v158
	v_fmac_f32_e32 v42, 0xbf7ba420, v61
	v_mul_f32_e32 v159, 0x3f7ee86f, v124
	v_add_f32_e32 v41, v42, v41
	v_mov_b32_e32 v42, v159
	v_fmac_f32_e32 v42, 0x3dbcf732, v68
	v_mul_f32_e32 v160, 0xbeb8f4ab, v125
	v_add_f32_e32 v41, v42, v41
	v_mov_b32_e32 v42, v160
	v_fmac_f32_e32 v42, 0x3f6eb680, v74
	v_mul_f32_e32 v161, 0xbf1a4643, v86
	v_add_f32_e32 v42, v42, v41
	v_mov_b32_e32 v41, v161
	v_fmac_f32_e32 v41, 0x3f4c4adb, v85
	v_mul_f32_e32 v162, 0xbf4c4adb, v126
	v_add_f32_e32 v41, v41, v40
	v_mov_b32_e32 v40, v162
	v_fmac_f32_e32 v40, 0xbf1a4643, v79
	v_mul_f32_e32 v163, 0xbf1a4643, v60
	v_add_f32_e32 v40, v40, v42
	v_mov_b32_e32 v42, v163
	v_mul_f32_e32 v164, 0xbe8c1d8e, v63
	v_fmac_f32_e32 v42, 0x3f4c4adb, v67
	v_mov_b32_e32 v43, v164
	v_add_f32_e32 v42, v42, v1
	v_fmac_f32_e32 v43, 0xbf763a35, v71
	v_mul_f32_e32 v165, 0x3f6eb680, v70
	v_add_f32_e32 v42, v43, v42
	v_mov_b32_e32 v43, v165
	v_fmac_f32_e32 v43, 0x3eb8f4ab, v72
	v_mul_f32_e32 v166, 0xbf59a7d5, v73
	v_add_f32_e32 v42, v43, v42
	v_mov_b32_e32 v43, v166
	v_fmac_f32_e32 v43, 0x3f06c442, v76
	v_mul_f32_e32 v167, 0x3dbcf732, v78
	v_add_f32_e32 v42, v43, v42
	v_mov_b32_e32 v43, v167
	v_fmac_f32_e32 v43, 0xbf7ee86f, v77
	v_mul_f32_e32 v168, 0x3f3d2fb0, v81
	v_add_f32_e32 v42, v43, v42
	v_mov_b32_e32 v43, v168
	v_fmac_f32_e32 v43, 0x3f2c7751, v80
	v_mul_f32_e32 v169, 0xbf7ba420, v83
	v_add_f32_e32 v42, v43, v42
	v_mov_b32_e32 v43, v169
	v_fmac_f32_e32 v43, 0x3e3c28d5, v82
	v_mul_f32_e32 v170, 0xbf4c4adb, v119
	v_add_f32_e32 v42, v43, v42
	v_mov_b32_e32 v43, v170
	v_mul_f32_e32 v171, 0x3f763a35, v120
	v_fmac_f32_e32 v43, 0xbf1a4643, v48
	v_mov_b32_e32 v127, v171
	v_add_f32_e32 v43, v43, v0
	v_fmac_f32_e32 v127, 0xbe8c1d8e, v51
	v_mul_f32_e32 v172, 0xbeb8f4ab, v121
	v_add_f32_e32 v43, v127, v43
	v_mov_b32_e32 v127, v172
	v_fmac_f32_e32 v127, 0x3f6eb680, v54
	v_mul_f32_e32 v173, 0xbf06c442, v122
	v_add_f32_e32 v43, v127, v43
	v_mov_b32_e32 v127, v173
	v_fmac_f32_e32 v127, 0xbf59a7d5, v57
	v_mul_f32_e32 v174, 0x3f7ee86f, v123
	v_add_f32_e32 v43, v127, v43
	v_mov_b32_e32 v127, v174
	;; [unrolled: 4-line block ×7, first 2 shown]
	v_mul_f32_e32 v180, 0x3ee437d1, v63
	v_fmac_f32_e32 v127, 0x3f06c442, v67
	v_mov_b32_e32 v128, v180
	v_add_f32_e32 v127, v127, v1
	v_fmac_f32_e32 v128, 0xbf65296c, v71
	v_mul_f32_e32 v181, 0x3dbcf732, v70
	v_add_f32_e32 v127, v128, v127
	v_mov_b32_e32 v128, v181
	v_fmac_f32_e32 v128, 0x3f7ee86f, v72
	v_mul_f32_e32 v182, 0xbf1a4643, v73
	v_add_f32_e32 v127, v128, v127
	v_mov_b32_e32 v128, v182
	;; [unrolled: 4-line block ×6, first 2 shown]
	v_mul_f32_e32 v187, 0x3f65296c, v120
	v_fmac_f32_e32 v128, 0xbf59a7d5, v48
	v_mov_b32_e32 v188, v187
	v_add_f32_e32 v128, v128, v0
	v_fmac_f32_e32 v188, 0x3ee437d1, v51
	v_add_f32_e32 v128, v188, v128
	v_mul_f32_e32 v188, 0xbf7ee86f, v121
	v_mov_b32_e32 v189, v188
	v_fmac_f32_e32 v189, 0x3dbcf732, v54
	v_add_f32_e32 v128, v189, v128
	v_mul_f32_e32 v189, 0x3f4c4adb, v122
	v_mov_b32_e32 v190, v189
	;; [unrolled: 4-line block ×5, first 2 shown]
	v_fmac_f32_e32 v193, 0x3f3d2fb0, v74
	v_mul_f32_e32 v194, 0xbe8c1d8e, v86
	v_add_f32_e32 v193, v193, v128
	v_mov_b32_e32 v128, v194
	v_fmac_f32_e32 v128, 0x3f763a35, v85
	v_mul_f32_e32 v195, 0xbf763a35, v126
	v_add_f32_e32 v128, v128, v127
	v_mov_b32_e32 v127, v195
	v_fmac_f32_e32 v127, 0xbe8c1d8e, v79
	v_add_f32_e32 v127, v127, v193
	v_mul_f32_e32 v193, 0xbf7ba420, v60
	v_mov_b32_e32 v196, v193
	v_mul_f32_e32 v197, 0x3f6eb680, v63
	v_fmac_f32_e32 v196, 0x3e3c28d5, v67
	v_mov_b32_e32 v198, v197
	v_add_f32_e32 v196, v196, v1
	v_fmac_f32_e32 v198, 0xbeb8f4ab, v71
	v_add_f32_e32 v196, v198, v196
	v_mul_f32_e32 v198, 0xbf59a7d5, v70
	v_mov_b32_e32 v199, v198
	v_fmac_f32_e32 v199, 0x3f06c442, v72
	v_add_f32_e32 v196, v199, v196
	v_mul_f32_e32 v199, 0x3f3d2fb0, v73
	v_mov_b32_e32 v200, v199
	;; [unrolled: 4-line block ×6, first 2 shown]
	v_mul_f32_e32 v204, 0x3eb8f4ab, v120
	v_fmac_f32_e32 v119, 0xbf7ba420, v48
	v_mov_b32_e32 v120, v204
	v_add_f32_e32 v119, v119, v0
	v_fmac_f32_e32 v120, 0x3f6eb680, v51
	v_mul_f32_e32 v121, 0xbf06c442, v121
	v_add_f32_e32 v119, v120, v119
	v_mov_b32_e32 v120, v121
	v_fmac_f32_e32 v120, 0xbf59a7d5, v54
	v_mul_f32_e32 v122, 0x3f2c7751, v122
	v_add_f32_e32 v119, v120, v119
	v_mov_b32_e32 v120, v122
	;; [unrolled: 4-line block ×7, first 2 shown]
	v_fmac_f32_e32 v196, 0x3dbcf732, v79
	v_fmac_f32_e32 v193, 0xbe3c28d5, v67
	v_add_f32_e32 v119, v196, v119
	v_add_f32_e32 v193, v193, v1
	v_fmac_f32_e32 v197, 0x3eb8f4ab, v71
	v_fma_f32 v196, v48, s19, -v203
	v_add_f32_e32 v193, v197, v193
	v_add_f32_e32 v196, v196, v0
	v_fma_f32 v197, v51, s6, -v204
	v_add_f32_e32 v196, v197, v196
	v_fma_f32 v121, v54, s18, -v121
	;; [unrolled: 2-line block ×7, first 2 shown]
	v_fmac_f32_e32 v179, 0xbf06c442, v67
	v_add_f32_e32 v121, v123, v121
	v_add_f32_e32 v123, v179, v1
	v_fmac_f32_e32 v180, 0x3f65296c, v71
	v_fma_f32 v124, v48, s18, -v186
	v_add_f32_e32 v123, v180, v123
	v_fmac_f32_e32 v181, 0xbf7ee86f, v72
	v_add_f32_e32 v124, v124, v0
	v_fma_f32 v125, v51, s10, -v187
	v_add_f32_e32 v123, v181, v123
	v_fmac_f32_e32 v182, 0x3f4c4adb, v76
	v_add_f32_e32 v124, v125, v124
	;; [unrolled: 4-line block ×5, first 2 shown]
	v_fma_f32 v125, v68, s19, -v191
	v_fmac_f32_e32 v129, 0xbf763a35, v67
	v_fmac_f32_e32 v131, 0xbf7ee86f, v67
	;; [unrolled: 1-line block ×4, first 2 shown]
	v_add_f32_e32 v123, v185, v123
	v_add_f32_e32 v124, v125, v124
	v_fma_f32 v125, v74, s7, -v192
	v_fmac_f32_e32 v194, 0xbf763a35, v85
	v_fmac_f32_e32 v163, 0xbf4c4adb, v67
	v_add_f32_e32 v129, v129, v1
	v_fmac_f32_e32 v130, 0x3f06c442, v71
	v_add_f32_e32 v131, v131, v1
	;; [unrolled: 2-line block ×4, first 2 shown]
	v_mul_f32_e32 v97, 0x3f6eb680, v48
	v_mul_f32_e32 v60, 0x3f6eb680, v60
	v_add_f32_e32 v125, v125, v124
	v_add_f32_e32 v124, v194, v123
	v_fma_f32 v123, v79, s16, -v195
	v_fma_f32 v126, v48, s17, -v170
	v_add_f32_e32 v129, v130, v129
	v_fma_f32 v130, v48, s16, -v154
	v_add_f32_e32 v131, v132, v131
	;; [unrolled: 2-line block ×3, first 2 shown]
	v_fma_f32 v104, v48, s10, -v110
	v_fma_f32 v48, v48, s7, -v91
	v_add_f32_e32 v46, v46, v60
	v_sub_f32_e32 v44, v97, v44
	v_add_f32_e32 v123, v123, v125
	v_add_f32_e32 v125, v163, v1
	;; [unrolled: 1-line block ×3, first 2 shown]
	v_fmac_f32_e32 v149, 0x3f2c7751, v72
	v_add_f32_e32 v130, v130, v0
	v_fmac_f32_e32 v133, 0x3f763a35, v72
	v_add_f32_e32 v132, v132, v0
	;; [unrolled: 2-line block ×3, first 2 shown]
	v_add_f32_e32 v48, v48, v0
	v_add_f32_e32 v46, v46, v1
	;; [unrolled: 1-line block ×5, first 2 shown]
	v_fmac_f32_e32 v198, 0xbf06c442, v72
	v_fmac_f32_e32 v165, 0xbeb8f4ab, v72
	v_fma_f32 v163, v51, s16, -v171
	v_add_f32_e32 v129, v149, v129
	v_fma_f32 v149, v51, s18, -v155
	v_add_f32_e32 v131, v133, v131
	;; [unrolled: 2-line block ×3, first 2 shown]
	v_fma_f32 v105, v51, s17, -v111
	v_fmac_f32_e32 v95, 0xbf4c4adb, v72
	v_mul_f32_e32 v72, 0x3f3d2fb0, v51
	v_fma_f32 v51, v51, s11, -v93
	v_add_f32_e32 v1, v5, v1
	v_add_f32_e32 v0, v4, v0
	v_add_f32_e32 v48, v51, v48
	v_fma_f32 v51, v54, s17, -v94
	v_add_f32_e32 v1, v7, v1
	v_add_f32_e32 v0, v6, v0
	v_add_f32_e32 v48, v51, v48
	v_fma_f32 v51, v57, s19, -v96
	v_add_f32_e32 v1, v9, v1
	v_add_f32_e32 v0, v8, v0
	v_add_f32_e32 v48, v51, v48
	v_fma_f32 v51, v61, s18, -v98
	v_add_f32_e32 v1, v11, v1
	v_add_f32_e32 v0, v10, v0
	v_add_f32_e32 v48, v51, v48
	v_fma_f32 v51, v68, s16, -v100
	v_add_f32_e32 v1, v13, v1
	v_add_f32_e32 v0, v12, v0
	v_fmac_f32_e32 v99, 0xbf7ee86f, v71
	v_add_f32_e32 v48, v51, v48
	v_fma_f32 v51, v74, s10, -v101
	v_add_f32_e32 v1, v15, v1
	v_add_f32_e32 v0, v14, v0
	v_add_f32_e32 v67, v99, v67
	v_mul_f32_e32 v63, 0x3f3d2fb0, v63
	v_add_f32_e32 v48, v51, v48
	v_fma_f32 v51, v79, s6, -v102
	v_add_f32_e32 v1, v17, v1
	v_add_f32_e32 v0, v16, v0
	v_fmac_f32_e32 v164, 0x3f763a35, v71
	v_add_f32_e32 v67, v95, v67
	v_mul_f32_e32 v95, 0x3ee437d1, v54
	v_mul_f32_e32 v99, 0x3ee437d1, v70
	v_add_f32_e32 v70, v51, v48
	v_add_f32_e32 v48, v49, v63
	v_sub_f32_e32 v45, v72, v45
	v_add_f32_e32 v1, v19, v1
	v_add_f32_e32 v0, v18, v0
	v_fmac_f32_e32 v199, 0x3f2c7751, v76
	v_add_f32_e32 v125, v164, v125
	v_fmac_f32_e32 v166, 0xbf06c442, v76
	v_fmac_f32_e32 v150, 0xbf65296c, v76
	;; [unrolled: 1-line block ×5, first 2 shown]
	v_mul_f32_e32 v76, 0x3dbcf732, v57
	v_mul_f32_e32 v73, 0x3dbcf732, v73
	v_add_f32_e32 v46, v48, v46
	v_add_f32_e32 v48, v52, v99
	;; [unrolled: 1-line block ×3, first 2 shown]
	v_sub_f32_e32 v45, v95, v47
	v_add_f32_e32 v1, v21, v1
	v_add_f32_e32 v0, v20, v0
	;; [unrolled: 1-line block ×4, first 2 shown]
	v_fma_f32 v163, v54, s6, -v172
	v_add_f32_e32 v130, v149, v130
	v_fma_f32 v149, v54, s7, -v156
	v_add_f32_e32 v132, v133, v132
	;; [unrolled: 2-line block ×4, first 2 shown]
	v_mul_f32_e32 v92, 0xbe8c1d8e, v61
	v_mul_f32_e32 v78, 0xbe8c1d8e, v78
	v_add_f32_e32 v46, v48, v46
	v_add_f32_e32 v48, v55, v73
	;; [unrolled: 1-line block ×3, first 2 shown]
	v_sub_f32_e32 v45, v76, v50
	v_add_f32_e32 v1, v23, v1
	v_add_f32_e32 v0, v22, v0
	;; [unrolled: 1-line block ×3, first 2 shown]
	v_fmac_f32_e32 v200, 0xbf4c4adb, v77
	v_add_f32_e32 v125, v166, v125
	v_fmac_f32_e32 v167, 0x3f7ee86f, v77
	v_add_f32_e32 v126, v163, v126
	v_fma_f32 v163, v57, s18, -v173
	v_add_f32_e32 v129, v150, v129
	v_fmac_f32_e32 v151, 0xbe3c28d5, v77
	v_add_f32_e32 v130, v149, v130
	v_fma_f32 v149, v57, s10, -v157
	;; [unrolled: 4-line block ×4, first 2 shown]
	v_fmac_f32_e32 v90, 0x3f06c442, v77
	v_mul_f32_e32 v77, 0xbf1a4643, v68
	v_mul_f32_e32 v81, 0xbf1a4643, v81
	v_add_f32_e32 v46, v48, v46
	v_add_f32_e32 v48, v58, v78
	;; [unrolled: 1-line block ×3, first 2 shown]
	v_sub_f32_e32 v45, v92, v53
	v_add_f32_e32 v1, v25, v1
	v_add_f32_e32 v0, v24, v0
	;; [unrolled: 1-line block ×4, first 2 shown]
	v_fmac_f32_e32 v168, 0xbf2c7751, v80
	v_add_f32_e32 v126, v163, v126
	v_fma_f32 v163, v61, s11, -v174
	v_add_f32_e32 v129, v151, v129
	v_fmac_f32_e32 v152, 0x3f7ee86f, v80
	v_add_f32_e32 v130, v149, v130
	v_fma_f32 v149, v61, s19, -v158
	v_add_f32_e32 v131, v135, v131
	;; [unrolled: 4-line block ×4, first 2 shown]
	v_mul_f32_e32 v90, 0xbf59a7d5, v74
	v_mul_f32_e32 v83, 0xbf59a7d5, v83
	v_add_f32_e32 v46, v48, v46
	v_add_f32_e32 v48, v62, v81
	;; [unrolled: 1-line block ×3, first 2 shown]
	v_sub_f32_e32 v45, v77, v56
	v_add_f32_e32 v1, v27, v1
	v_add_f32_e32 v0, v26, v0
	;; [unrolled: 1-line block ×3, first 2 shown]
	v_fmac_f32_e32 v201, 0x3f65296c, v80
	v_add_f32_e32 v125, v168, v125
	v_fmac_f32_e32 v169, 0xbe3c28d5, v82
	v_add_f32_e32 v126, v163, v126
	v_fma_f32 v163, v68, s7, -v175
	v_add_f32_e32 v129, v152, v129
	v_fmac_f32_e32 v153, 0xbeb8f4ab, v82
	v_add_f32_e32 v130, v149, v130
	v_fma_f32 v149, v68, s11, -v159
	;; [unrolled: 4-line block ×4, first 2 shown]
	v_fmac_f32_e32 v87, 0x3f763a35, v80
	v_mul_f32_e32 v80, 0xbf7ba420, v79
	v_mul_f32_e32 v86, 0xbf7ba420, v86
	v_add_f32_e32 v46, v48, v46
	v_add_f32_e32 v48, v69, v83
	;; [unrolled: 1-line block ×3, first 2 shown]
	v_sub_f32_e32 v45, v90, v59
	v_add_f32_e32 v1, v29, v1
	v_add_f32_e32 v0, v28, v0
	;; [unrolled: 1-line block ×3, first 2 shown]
	v_fmac_f32_e32 v202, 0xbf763a35, v82
	v_add_f32_e32 v125, v169, v125
	v_add_f32_e32 v126, v163, v126
	v_fma_f32 v163, v74, s19, -v176
	v_fmac_f32_e32 v177, 0x3f65296c, v85
	v_add_f32_e32 v129, v153, v129
	v_add_f32_e32 v130, v149, v130
	v_fma_f32 v149, v74, s6, -v160
	;; [unrolled: 4-line block ×4, first 2 shown]
	v_fmac_f32_e32 v114, 0xbf06c442, v85
	v_add_f32_e32 v67, v87, v67
	v_fmac_f32_e32 v88, 0x3f65296c, v82
	v_add_f32_e32 v46, v48, v46
	v_add_f32_e32 v48, v75, v86
	;; [unrolled: 1-line block ×3, first 2 shown]
	v_sub_f32_e32 v45, v80, v66
	v_add_f32_e32 v1, v31, v1
	v_add_f32_e32 v0, v30, v0
	v_mul_lo_u16_e32 v2, 17, v147
	v_add_f32_e32 v193, v202, v193
	v_fmac_f32_e32 v205, 0x3f7ee86f, v85
	v_add_f32_e32 v163, v163, v126
	v_add_f32_e32 v126, v177, v125
	v_fma_f32 v125, v79, s10, -v178
	v_add_f32_e32 v149, v149, v130
	v_add_f32_e32 v130, v161, v129
	v_fma_f32 v129, v79, s17, -v162
	;; [unrolled: 3-line block ×4, first 2 shown]
	v_add_f32_e32 v67, v88, v67
	v_fmac_f32_e32 v89, 0x3eb8f4ab, v85
	v_add_f32_e32 v46, v48, v46
	v_add_f32_e32 v45, v45, v44
	;; [unrolled: 1-line block ×4, first 2 shown]
	v_lshlrev_b32_e32 v2, 3, v2
	v_add_f32_e32 v122, v205, v193
	v_add_f32_e32 v125, v125, v163
	;; [unrolled: 1-line block ×6, first 2 shown]
	ds_write2_b64 v2, v[0:1], v[45:46] offset1:1
	ds_write2_b64 v2, v[70:71], v[103:104] offset0:2 offset1:3
	ds_write2_b64 v2, v[131:132], v[129:130] offset0:4 offset1:5
	;; [unrolled: 1-line block ×7, first 2 shown]
	ds_write_b64 v2, v[64:65] offset:128
.LBB0_7:
	s_or_b64 exec, exec, s[4:5]
	s_load_dwordx4 s[4:7], s[2:3], 0x0
	s_movk_i32 s2, 0x1dc
	v_add_co_u32_e32 v38, vcc, s2, v147
	s_movk_i32 s2, 0x253
	v_add_co_u32_e32 v39, vcc, s2, v147
	;; [unrolled: 2-line block ×4, first 2 shown]
	s_movk_i32 s2, 0xf1
	v_mul_lo_u16_sdwa v42, v147, s2 dst_sel:DWORD dst_unused:UNUSED_PAD src0_sel:BYTE_0 src1_sel:DWORD
	v_lshrrev_b16_e32 v43, 12, v42
	v_add_u16_e32 v8, 0x77, v147
	v_mul_lo_u16_e32 v0, 17, v43
	v_mul_lo_u16_sdwa v45, v8, s2 dst_sel:DWORD dst_unused:UNUSED_PAD src0_sel:BYTE_0 src1_sel:DWORD
	v_sub_u16_e32 v0, v147, v0
	v_lshrrev_b16_e32 v46, 12, v45
	v_and_b32_e32 v44, 0xff, v0
	v_mul_lo_u16_e32 v0, 17, v46
	v_add_co_u32_e32 v37, vcc, 0x165, v147
	v_sub_u16_e32 v0, v8, v0
	s_mov_b32 s2, 0xf0f1
	v_and_b32_e32 v47, 0xff, v0
	v_add_u16_e32 v0, 0xee, v147
	v_mul_u32_u24_sdwa v50, v37, s2 dst_sel:DWORD dst_unused:UNUSED_PAD src0_sel:WORD_0 src1_sel:DWORD
	v_mul_u32_u24_e32 v1, 0xf0f1, v0
	v_lshrrev_b32_e32 v51, 20, v50
	v_lshrrev_b32_e32 v48, 20, v1
	v_mul_lo_u16_e32 v5, 17, v51
	v_lshlrev_b32_e32 v2, 3, v44
	v_mul_lo_u16_e32 v4, 17, v48
	v_sub_u16_e32 v52, v37, v5
	v_mul_u32_u24_sdwa v53, v38, s2 dst_sel:DWORD dst_unused:UNUSED_PAD src0_sel:WORD_0 src1_sel:DWORD
	v_mul_u32_u24_sdwa v56, v39, s2 dst_sel:DWORD dst_unused:UNUSED_PAD src0_sel:WORD_0 src1_sel:DWORD
	s_waitcnt lgkmcnt(0)
	s_barrier
	v_lshlrev_b32_e32 v3, 3, v47
	v_sub_u16_e32 v49, v0, v4
	global_load_dwordx2 v[91:92], v2, s[8:9]
	v_lshlrev_b32_e32 v2, 3, v52
	v_lshrrev_b32_e32 v54, 20, v53
	v_lshrrev_b32_e32 v57, 20, v56
	v_lshlrev_b32_e32 v4, 3, v49
	global_load_dwordx2 v[89:90], v3, s[8:9]
	global_load_dwordx2 v[87:88], v4, s[8:9]
	;; [unrolled: 1-line block ×3, first 2 shown]
	v_mul_lo_u16_e32 v2, 17, v54
	v_mul_lo_u16_e32 v3, 17, v57
	v_sub_u16_e32 v55, v38, v2
	v_sub_u16_e32 v58, v39, v3
	v_mul_u32_u24_sdwa v59, v40, s2 dst_sel:DWORD dst_unused:UNUSED_PAD src0_sel:WORD_0 src1_sel:DWORD
	v_lshlrev_b32_e32 v2, 3, v55
	v_lshlrev_b32_e32 v3, 3, v58
	v_lshrrev_b32_e32 v60, 20, v59
	global_load_dwordx2 v[95:96], v2, s[8:9]
	global_load_dwordx2 v[93:94], v3, s[8:9]
	v_mul_lo_u16_e32 v2, 17, v60
	v_sub_u16_e32 v61, v40, v2
	v_mul_u32_u24_sdwa v62, v41, s2 dst_sel:DWORD dst_unused:UNUSED_PAD src0_sel:WORD_0 src1_sel:DWORD
	v_lshlrev_b32_e32 v2, 3, v61
	v_lshrrev_b32_e32 v63, 20, v62
	global_load_dwordx2 v[99:100], v2, s[8:9]
	v_mul_lo_u16_e32 v2, 17, v63
	v_sub_u16_e32 v66, v41, v2
	v_lshlrev_b32_e32 v2, 3, v66
	global_load_dwordx2 v[97:98], v2, s[8:9]
	v_mov_b32_e32 v2, 3
	v_lshlrev_b32_sdwa v149, v2, v147 dst_sel:DWORD dst_unused:UNUSED_PAD src0_sel:DWORD src1_sel:WORD_0
	v_add_u32_e32 v67, 0x1c00, v149
	ds_read2_b64 v[9:12], v67 offset0:56 offset1:175
	v_add_u32_e32 v69, 0x2400, v149
	ds_read2_b64 v[17:20], v69 offset0:38 offset1:157
	;; [unrolled: 2-line block ×4, first 2 shown]
	ds_read2_b64 v[2:5], v149 offset1:119
	v_add_u32_e32 v68, 0x400, v149
	v_add_u32_e32 v70, 0xc00, v149
	;; [unrolled: 1-line block ×3, first 2 shown]
	ds_read2_b64 v[13:16], v68 offset0:110 offset1:229
	ds_read2_b64 v[21:24], v70 offset0:92 offset1:211
	;; [unrolled: 1-line block ×3, first 2 shown]
	s_waitcnt vmcnt(0) lgkmcnt(0)
	s_barrier
	v_lshrrev_b16_e32 v42, 13, v42
	s_movk_i32 s10, 0x44
	v_cmp_gt_u16_e32 vcc, 34, v147
                                        ; implicit-def: $vgpr74
                                        ; implicit-def: $vgpr76
	v_mul_f32_e32 v6, v10, v92
	v_fma_f32 v6, v9, v91, -v6
	v_mul_f32_e32 v7, v9, v92
	v_mul_f32_e32 v9, v12, v90
	v_fmac_f32_e32 v7, v10, v91
	v_fma_f32 v9, v11, v89, -v9
	v_mul_f32_e32 v10, v11, v90
	v_mul_f32_e32 v11, v18, v88
	v_fmac_f32_e32 v10, v12, v89
	;; [unrolled: 4-line block ×7, first 2 shown]
	v_fma_f32 v33, v35, v97, -v33
	v_mul_f32_e32 v34, v35, v98
	v_mul_lo_u16_e32 v35, 34, v43
	v_sub_f32_e32 v6, v2, v6
	v_sub_f32_e32 v7, v3, v7
	v_and_b32_e32 v35, 0xfe, v35
	v_fma_f32 v2, v2, 2.0, -v6
	v_fma_f32 v3, v3, 2.0, -v7
	v_add_lshl_u32 v161, v35, v44, 3
	ds_write2_b64 v161, v[2:3], v[6:7] offset1:17
	v_mul_u32_u24_e32 v2, 34, v46
	v_add_lshl_u32 v162, v2, v47, 3
	v_mad_legacy_u16 v2, v48, 34, v49
	v_lshlrev_b32_e32 v163, 3, v2
	v_mad_legacy_u16 v2, v51, 34, v52
	v_lshlrev_b32_e32 v164, 3, v2
	;; [unrolled: 2-line block ×5, first 2 shown]
	v_mad_legacy_u16 v2, v63, 34, v66
	v_lshrrev_b16_e32 v44, 13, v45
	v_sub_f32_e32 v9, v4, v9
	v_sub_f32_e32 v10, v5, v10
	v_lshlrev_b32_e32 v167, 3, v2
	v_mul_lo_u16_e32 v2, 34, v42
	v_mul_lo_u16_e32 v3, 34, v44
	v_fmac_f32_e32 v34, v36, v97
	v_fma_f32 v4, v4, 2.0, -v9
	v_fma_f32 v5, v5, 2.0, -v10
	v_sub_u16_e32 v2, v147, v2
	v_sub_u16_e32 v3, v8, v3
	v_lshrrev_b32_e32 v46, 21, v1
	v_sub_f32_e32 v11, v13, v11
	v_sub_f32_e32 v12, v14, v12
	;; [unrolled: 1-line block ×12, first 2 shown]
	ds_write2_b64 v162, v[4:5], v[9:10] offset1:17
	v_and_b32_e32 v43, 0xff, v2
	v_and_b32_e32 v45, 0xff, v3
	v_mul_lo_u16_e32 v4, 34, v46
	v_lshrrev_b32_e32 v48, 21, v50
	v_fma_f32 v13, v13, 2.0, -v11
	v_fma_f32 v14, v14, 2.0, -v12
	;; [unrolled: 1-line block ×12, first 2 shown]
	v_lshlrev_b32_e32 v2, 3, v43
	v_lshlrev_b32_e32 v3, 3, v45
	v_sub_u16_e32 v47, v0, v4
	v_mul_lo_u16_e32 v4, 34, v48
	ds_write2_b64 v163, v[13:14], v[11:12] offset1:17
	ds_write2_b64 v164, v[15:16], v[17:18] offset1:17
	;; [unrolled: 1-line block ×6, first 2 shown]
	s_waitcnt lgkmcnt(0)
	s_barrier
	global_load_dwordx2 v[103:104], v2, s[8:9] offset:136
	global_load_dwordx2 v[107:108], v3, s[8:9] offset:136
	v_lshlrev_b32_e32 v2, 3, v47
	v_sub_u16_e32 v37, v37, v4
	v_lshrrev_b32_e32 v49, 21, v53
	v_lshlrev_b32_e32 v3, 3, v37
	global_load_dwordx2 v[105:106], v2, s[8:9] offset:136
	global_load_dwordx2 v[101:102], v3, s[8:9] offset:136
	v_mul_lo_u16_e32 v2, 34, v49
	v_lshrrev_b32_e32 v50, 21, v56
	v_sub_u16_e32 v38, v38, v2
	v_mul_lo_u16_e32 v3, 34, v50
	v_lshrrev_b32_e32 v51, 21, v59
	v_lshlrev_b32_e32 v2, 3, v38
	v_sub_u16_e32 v39, v39, v3
	v_mul_lo_u16_e32 v3, 34, v51
	global_load_dwordx2 v[109:110], v2, s[8:9] offset:136
	v_lshlrev_b32_e32 v2, 3, v39
	v_sub_u16_e32 v40, v40, v3
	global_load_dwordx2 v[111:112], v2, s[8:9] offset:136
	v_lshlrev_b32_e32 v2, 3, v40
	v_lshrrev_b32_e32 v52, 21, v62
	global_load_dwordx2 v[115:116], v2, s[8:9] offset:136
	v_mul_lo_u16_e32 v2, 34, v52
	v_sub_u16_e32 v41, v41, v2
	v_lshlrev_b32_e32 v2, 3, v41
	global_load_dwordx2 v[113:114], v2, s[8:9] offset:136
	ds_read2_b64 v[2:5], v149 offset1:119
	ds_read2_b64 v[9:12], v67 offset0:56 offset1:175
	ds_read2_b64 v[13:16], v68 offset0:110 offset1:229
	ds_read2_b64 v[17:20], v69 offset0:38 offset1:157
	ds_read2_b64 v[21:24], v70 offset0:92 offset1:211
	ds_read2_b64 v[25:28], v71 offset0:20 offset1:139
	ds_read2_b64 v[29:32], v72 offset0:74 offset1:193
	ds_read2_b64 v[33:36], v73 offset0:130 offset1:249
	s_waitcnt vmcnt(0) lgkmcnt(0)
	s_barrier
	s_waitcnt lgkmcnt(0)
                                        ; implicit-def: $vgpr70
                                        ; implicit-def: $vgpr72
	v_mul_f32_e32 v6, v10, v104
	v_fma_f32 v6, v9, v103, -v6
	v_mul_f32_e32 v7, v9, v104
	v_mul_f32_e32 v9, v12, v108
	v_fmac_f32_e32 v7, v10, v103
	v_fma_f32 v9, v11, v107, -v9
	v_mul_f32_e32 v10, v11, v108
	v_mul_f32_e32 v11, v18, v106
	v_fmac_f32_e32 v10, v12, v107
	;; [unrolled: 4-line block ×6, first 2 shown]
	v_fma_f32 v27, v33, v115, -v27
	v_mul_f32_e32 v28, v33, v116
	v_mul_f32_e32 v33, v36, v114
	v_fma_f32 v33, v35, v113, -v33
	v_sub_f32_e32 v68, v31, v33
	v_fma_f32 v66, v31, 2.0, -v68
	v_mul_lo_u16_e32 v31, 0x44, v42
	v_sub_f32_e32 v6, v2, v6
	v_sub_f32_e32 v7, v3, v7
	v_and_b32_e32 v31, 0xfc, v31
	v_fma_f32 v2, v2, 2.0, -v6
	v_fma_f32 v3, v3, 2.0, -v7
	v_add_lshl_u32 v168, v31, v43, 3
	ds_write2_b64 v168, v[2:3], v[6:7] offset1:34
	v_mul_u32_u24_e32 v2, 0x44, v44
	v_add_lshl_u32 v214, v2, v45, 3
	v_mad_legacy_u16 v2, v46, s10, v47
	v_lshlrev_b32_e32 v215, 3, v2
	v_mad_legacy_u16 v2, v48, s10, v37
	v_lshlrev_b32_e32 v217, 3, v2
	v_mad_legacy_u16 v2, v49, s10, v38
	v_fmac_f32_e32 v28, v34, v115
	v_mul_f32_e32 v34, v35, v114
	v_lshlrev_b32_e32 v218, 3, v2
	v_mad_legacy_u16 v2, v50, s10, v39
	v_fmac_f32_e32 v34, v36, v113
	v_lshlrev_b32_e32 v219, 3, v2
	v_mad_legacy_u16 v2, v51, s10, v40
	v_sub_f32_e32 v9, v4, v9
	v_sub_f32_e32 v10, v5, v10
	;; [unrolled: 1-line block ×13, first 2 shown]
	v_lshlrev_b32_e32 v220, 3, v2
	v_mad_legacy_u16 v2, v52, s10, v41
	v_fma_f32 v4, v4, 2.0, -v9
	v_fma_f32 v5, v5, 2.0, -v10
	;; [unrolled: 1-line block ×13, first 2 shown]
	v_lshlrev_b32_e32 v221, 3, v2
	v_add_u32_e32 v2, 0x800, v149
	ds_write2_b64 v214, v[4:5], v[9:10] offset1:34
	ds_write2_b64 v215, v[13:14], v[11:12] offset1:34
	;; [unrolled: 1-line block ×7, first 2 shown]
	s_waitcnt lgkmcnt(0)
	s_barrier
	ds_read2_b64 v[40:43], v2 offset0:16 offset1:135
	v_add_u32_e32 v2, 0x1000, v149
	ds_read2_b64 v[44:47], v2 offset0:32 offset1:151
	v_add_u32_e32 v2, 0x1800, v149
	;; [unrolled: 2-line block ×4, first 2 shown]
	ds_read2_b64 v[36:39], v149 offset1:119
	ds_read2_b64 v[56:59], v2 offset0:80 offset1:199
	ds_read2_b64 v[60:63], v73 offset0:96 offset1:215
	s_and_saveexec_b64 s[2:3], vcc
	s_cbranch_execz .LBB0_9
; %bb.8:
	ds_read_b64 v[66:67], v149 offset:1904
	ds_read_b64 v[68:69], v149 offset:4080
	;; [unrolled: 1-line block ×7, first 2 shown]
.LBB0_9:
	s_or_b64 exec, exec, s[2:3]
	v_add_u32_e32 v2, 0xffffffbc, v147
	v_cmp_gt_u16_e64 s[2:3], s10, v147
	v_cndmask_b32_e64 v78, v2, v147, s[2:3]
	v_mul_i32_i24_e32 v2, 48, v78
	v_mul_hi_i32_i24_e32 v3, 48, v78
	v_mov_b32_e32 v4, s9
	v_add_co_u32_e64 v2, s[2:3], s8, v2
	v_addc_co_u32_e64 v3, s[2:3], v4, v3, s[2:3]
	s_movk_i32 s2, 0x79
	global_load_dwordx4 v[20:23], v[2:3], off offset:408
	global_load_dwordx4 v[16:19], v[2:3], off offset:424
	;; [unrolled: 1-line block ×3, first 2 shown]
	v_lshrrev_b32_e32 v1, 22, v1
	v_mul_lo_u16_sdwa v2, v8, s2 dst_sel:DWORD dst_unused:UNUSED_PAD src0_sel:BYTE_0 src1_sel:DWORD
	v_mul_lo_u16_e32 v1, 0x44, v1
	v_lshrrev_b16_e32 v79, 13, v2
	v_sub_u16_e32 v80, v0, v1
	v_mul_lo_u16_e32 v11, 0x44, v79
	v_mul_lo_u16_e32 v0, 48, v80
	v_sub_u16_e32 v8, v8, v11
	v_add_co_u32_e64 v9, s[2:3], s8, v0
	v_and_b32_e32 v81, 0xff, v8
	v_addc_co_u32_e64 v10, s[2:3], 0, v4, s[2:3]
	v_mad_u64_u32 v[24:25], s[2:3], v81, 48, s[8:9]
	global_load_dwordx4 v[4:7], v[9:10], off offset:424
	global_load_dwordx4 v[0:3], v[9:10], off offset:408
	;; [unrolled: 1-line block ×4, first 2 shown]
	s_nop 0
	global_load_dwordx4 v[24:27], v[24:25], off offset:440
	s_nop 0
	global_load_dwordx4 v[8:11], v[9:10], off offset:440
	s_mov_b32 s2, 0x3f5ff5aa
	s_mov_b32 s3, 0x3f3bfb3b
	;; [unrolled: 1-line block ×4, first 2 shown]
	s_waitcnt vmcnt(0) lgkmcnt(0)
	s_barrier
	v_mul_f32_e32 v118, v44, v23
	v_mul_f32_e32 v121, v53, v19
	;; [unrolled: 1-line block ×10, first 2 shown]
	v_fmac_f32_e32 v118, v45, v22
	v_fma_f32 v45, v52, v18, -v121
	v_mul_f32_e32 v124, v56, v13
	v_fma_f32 v40, v40, v20, -v82
	v_fmac_f32_e32 v83, v41, v20
	v_fma_f32 v41, v44, v22, -v117
	v_fma_f32 v44, v48, v16, -v119
	v_fmac_f32_e32 v120, v49, v16
	v_mul_f32_e32 v52, v69, v1
	v_fma_f32 v48, v56, v12, -v123
	v_fma_f32 v49, v60, v14, -v125
	v_mul_f32_e32 v82, v68, v1
	v_mul_f32_e32 v56, v75, v5
	v_fma_f32 v119, v68, v0, -v52
	v_mul_f32_e32 v52, v43, v33
	v_mul_f32_e32 v123, v58, v25
	;; [unrolled: 1-line block ×3, first 2 shown]
	v_fmac_f32_e32 v124, v57, v12
	v_fmac_f32_e32 v82, v69, v0
	v_mul_f32_e32 v57, v42, v33
	v_mul_f32_e32 v69, v59, v25
	v_fma_f32 v128, v42, v32, -v52
	v_fmac_f32_e32 v123, v59, v24
	v_fma_f32 v59, v62, v26, -v125
	v_fma_f32 v125, v74, v4, -v56
	v_mul_f32_e32 v74, v74, v5
	v_mul_f32_e32 v42, v77, v7
	v_fmac_f32_e32 v74, v75, v4
	v_fma_f32 v75, v76, v6, -v42
	v_mul_f32_e32 v76, v76, v7
	v_mul_f32_e32 v42, v71, v9
	;; [unrolled: 1-line block ×3, first 2 shown]
	v_fmac_f32_e32 v122, v53, v18
	v_mul_f32_e32 v53, v65, v3
	v_mul_f32_e32 v60, v46, v35
	v_fmac_f32_e32 v76, v77, v6
	v_fma_f32 v77, v70, v8, -v42
	v_mul_f32_e32 v42, v73, v11
	v_fmac_f32_e32 v126, v61, v14
	v_mul_f32_e32 v117, v64, v3
	v_fma_f32 v121, v64, v2, -v53
	v_mul_f32_e32 v53, v47, v35
	v_mul_f32_e32 v61, v51, v29
	v_fmac_f32_e32 v60, v47, v34
	v_fma_f32 v131, v72, v10, -v42
	v_add_f32_e32 v42, v40, v49
	v_add_f32_e32 v47, v41, v48
	v_fmac_f32_e32 v117, v65, v2
	v_mul_f32_e32 v64, v50, v29
	v_mul_f32_e32 v65, v55, v31
	v_fmac_f32_e32 v57, v43, v32
	v_fma_f32 v61, v50, v28, -v61
	v_add_f32_e32 v43, v83, v126
	v_sub_f32_e32 v40, v40, v49
	v_add_f32_e32 v49, v118, v124
	v_sub_f32_e32 v41, v41, v48
	;; [unrolled: 2-line block ×3, first 2 shown]
	v_add_f32_e32 v52, v47, v42
	v_mul_f32_e32 v68, v54, v31
	v_mul_f32_e32 v127, v62, v27
	v_fma_f32 v129, v46, v34, -v53
	v_fmac_f32_e32 v64, v51, v28
	v_fma_f32 v65, v54, v30, -v65
	v_sub_f32_e32 v48, v118, v124
	v_add_f32_e32 v51, v120, v122
	v_sub_f32_e32 v45, v122, v120
	v_add_f32_e32 v53, v49, v43
	v_sub_f32_e32 v54, v47, v42
	v_sub_f32_e32 v56, v42, v50
	;; [unrolled: 1-line block ×3, first 2 shown]
	v_add_f32_e32 v42, v44, v41
	v_add_f32_e32 v50, v50, v52
	v_fmac_f32_e32 v68, v55, v30
	v_fmac_f32_e32 v127, v63, v26
	v_sub_f32_e32 v46, v83, v126
	v_sub_f32_e32 v55, v49, v43
	;; [unrolled: 1-line block ×4, first 2 shown]
	v_add_f32_e32 v43, v45, v48
	v_sub_f32_e32 v63, v44, v41
	v_sub_f32_e32 v44, v40, v44
	;; [unrolled: 1-line block ×3, first 2 shown]
	v_add_f32_e32 v51, v51, v53
	v_add_f32_e32 v40, v42, v40
	;; [unrolled: 1-line block ×3, first 2 shown]
	v_fma_f32 v58, v58, v24, -v69
	v_mul_f32_e32 v130, v70, v9
	v_sub_f32_e32 v69, v45, v48
	v_sub_f32_e32 v45, v46, v45
	v_sub_f32_e32 v48, v48, v46
	v_add_f32_e32 v46, v43, v46
	v_add_f32_e32 v43, v37, v51
	v_mov_b32_e32 v70, v42
	v_mul_f32_e32 v36, 0x3f4a47b2, v56
	v_mul_f32_e32 v37, 0x3f4a47b2, v62
	;; [unrolled: 1-line block ×8, first 2 shown]
	v_fmac_f32_e32 v70, 0xbf955555, v50
	v_mov_b32_e32 v50, v43
	v_fmac_f32_e32 v50, 0xbf955555, v51
	v_fma_f32 v51, v54, s3, -v52
	v_fma_f32 v52, v55, s3, -v53
	;; [unrolled: 1-line block ×3, first 2 shown]
	v_fmac_f32_e32 v36, 0x3d64c772, v47
	v_fma_f32 v47, v55, s10, -v37
	v_fmac_f32_e32 v37, 0x3d64c772, v49
	v_fma_f32 v41, v41, s2, -v56
	v_fmac_f32_e32 v56, 0x3eae86e6, v44
	v_fma_f32 v54, v48, s2, -v62
	v_fmac_f32_e32 v62, 0x3eae86e6, v45
	v_fma_f32 v55, v44, s11, -v63
	v_fma_f32 v63, v45, s11, -v69
	v_add_f32_e32 v36, v36, v70
	v_add_f32_e32 v37, v37, v50
	;; [unrolled: 1-line block ×6, first 2 shown]
	v_fmac_f32_e32 v56, 0x3ee1c552, v40
	v_fmac_f32_e32 v62, 0x3ee1c552, v46
	;; [unrolled: 1-line block ×6, first 2 shown]
	v_add_f32_e32 v44, v62, v36
	v_sub_f32_e32 v45, v37, v56
	v_add_f32_e32 v46, v63, v53
	v_sub_f32_e32 v47, v69, v55
	v_sub_f32_e32 v48, v51, v54
	v_add_f32_e32 v49, v41, v52
	v_add_f32_e32 v50, v54, v51
	v_sub_f32_e32 v51, v52, v41
	v_sub_f32_e32 v52, v53, v63
	v_add_f32_e32 v53, v55, v69
	v_sub_f32_e32 v54, v36, v62
	v_add_f32_e32 v55, v56, v37
	v_add_f32_e32 v36, v128, v59
	;; [unrolled: 1-line block ×4, first 2 shown]
	v_sub_f32_e32 v40, v128, v59
	v_sub_f32_e32 v41, v57, v127
	v_add_f32_e32 v57, v60, v123
	v_sub_f32_e32 v58, v129, v58
	v_sub_f32_e32 v59, v60, v123
	v_add_f32_e32 v60, v61, v65
	v_add_f32_e32 v62, v64, v68
	v_sub_f32_e32 v61, v65, v61
	v_sub_f32_e32 v63, v68, v64
	v_add_f32_e32 v64, v56, v36
	v_mul_f32_e32 v72, v72, v11
	v_add_f32_e32 v65, v57, v37
	v_sub_f32_e32 v68, v56, v36
	v_sub_f32_e32 v36, v36, v60
	;; [unrolled: 1-line block ×3, first 2 shown]
	v_add_f32_e32 v56, v61, v58
	v_add_f32_e32 v60, v60, v64
	v_fmac_f32_e32 v130, v71, v8
	v_fmac_f32_e32 v72, v73, v10
	v_sub_f32_e32 v69, v57, v37
	v_sub_f32_e32 v37, v37, v62
	;; [unrolled: 1-line block ×3, first 2 shown]
	v_add_f32_e32 v57, v63, v59
	v_sub_f32_e32 v73, v61, v58
	v_sub_f32_e32 v61, v40, v61
	;; [unrolled: 1-line block ×3, first 2 shown]
	v_add_f32_e32 v62, v62, v65
	v_add_f32_e32 v40, v56, v40
	;; [unrolled: 1-line block ×3, first 2 shown]
	v_sub_f32_e32 v83, v63, v59
	v_sub_f32_e32 v63, v41, v63
	;; [unrolled: 1-line block ×3, first 2 shown]
	v_add_f32_e32 v41, v57, v41
	v_add_f32_e32 v57, v39, v62
	v_mov_b32_e32 v118, v56
	v_mul_f32_e32 v36, 0x3f4a47b2, v36
	v_mul_f32_e32 v38, 0x3d64c772, v70
	v_mul_f32_e32 v83, 0xbf08b237, v83
	v_fmac_f32_e32 v118, 0xbf955555, v60
	v_mov_b32_e32 v60, v57
	v_mul_f32_e32 v37, 0x3f4a47b2, v37
	v_mul_f32_e32 v39, 0x3d64c772, v71
	v_mul_f32_e32 v73, 0xbf08b237, v73
	v_mul_f32_e32 v64, 0x3f5ff5aa, v58
	v_fmac_f32_e32 v60, 0xbf955555, v62
	v_fma_f32 v38, v68, s3, -v38
	v_fma_f32 v62, v68, s10, -v36
	v_fmac_f32_e32 v36, 0x3d64c772, v70
	v_fma_f32 v70, v59, s2, -v83
	v_fmac_f32_e32 v83, 0x3eae86e6, v63
	v_mul_f32_e32 v65, 0x3f5ff5aa, v59
	v_fma_f32 v39, v69, s3, -v39
	v_fma_f32 v68, v69, s10, -v37
	v_fmac_f32_e32 v37, 0x3d64c772, v71
	v_fma_f32 v69, v58, s2, -v73
	v_fmac_f32_e32 v73, 0x3eae86e6, v61
	v_fma_f32 v71, v61, s11, -v64
	v_add_f32_e32 v36, v36, v118
	v_add_f32_e32 v38, v38, v118
	v_fmac_f32_e32 v83, 0x3ee1c552, v41
	v_fmac_f32_e32 v70, 0x3ee1c552, v41
	v_fma_f32 v120, v63, s11, -v65
	v_add_f32_e32 v37, v37, v60
	v_add_f32_e32 v39, v39, v60
	;; [unrolled: 1-line block ×4, first 2 shown]
	v_fmac_f32_e32 v73, 0x3ee1c552, v40
	v_fmac_f32_e32 v69, 0x3ee1c552, v40
	v_fmac_f32_e32 v71, 0x3ee1c552, v40
	v_add_f32_e32 v58, v83, v36
	v_sub_f32_e32 v62, v38, v70
	v_add_f32_e32 v64, v70, v38
	v_sub_f32_e32 v70, v36, v83
	v_add_f32_e32 v36, v119, v131
	v_add_f32_e32 v40, v121, v77
	v_fmac_f32_e32 v120, 0x3ee1c552, v41
	v_sub_f32_e32 v59, v37, v73
	v_sub_f32_e32 v61, v122, v71
	v_add_f32_e32 v63, v69, v39
	v_sub_f32_e32 v65, v39, v69
	v_add_f32_e32 v69, v71, v122
	v_add_f32_e32 v71, v73, v37
	;; [unrolled: 1-line block ×3, first 2 shown]
	v_sub_f32_e32 v39, v82, v72
	v_add_f32_e32 v41, v117, v130
	v_sub_f32_e32 v72, v121, v77
	v_add_f32_e32 v77, v125, v75
	v_add_f32_e32 v82, v74, v76
	v_sub_f32_e32 v75, v75, v125
	v_sub_f32_e32 v74, v76, v74
	v_add_f32_e32 v76, v40, v36
	v_sub_f32_e32 v38, v119, v131
	v_sub_f32_e32 v73, v117, v130
	;; [unrolled: 3-line block ×3, first 2 shown]
	v_add_f32_e32 v36, v75, v72
	v_add_f32_e32 v76, v77, v76
	;; [unrolled: 1-line block ×3, first 2 shown]
	v_sub_f32_e32 v68, v118, v120
	v_sub_f32_e32 v118, v41, v37
	;; [unrolled: 1-line block ×5, first 2 shown]
	v_add_f32_e32 v37, v74, v73
	v_add_f32_e32 v77, v82, v83
	v_add_f32_e32 v82, v36, v38
	v_add_f32_e32 v36, v66, v76
	v_sub_f32_e32 v122, v74, v73
	v_add_f32_e32 v83, v37, v39
	v_add_f32_e32 v37, v67, v77
	v_mov_b32_e32 v123, v36
	v_sub_f32_e32 v121, v75, v72
	v_sub_f32_e32 v74, v39, v74
	v_sub_f32_e32 v73, v73, v39
	v_mul_f32_e32 v66, 0x3f4a47b2, v119
	v_mul_f32_e32 v119, 0x3d64c772, v40
	;; [unrolled: 1-line block ×3, first 2 shown]
	v_fmac_f32_e32 v123, 0xbf955555, v76
	v_mov_b32_e32 v76, v37
	v_sub_f32_e32 v75, v38, v75
	v_sub_f32_e32 v72, v72, v38
	v_mul_f32_e32 v38, 0xbf08b237, v121
	v_mul_f32_e32 v122, 0x3f5ff5aa, v73
	v_fmac_f32_e32 v76, 0xbf955555, v77
	v_fma_f32 v77, v117, s3, -v119
	v_fma_f32 v117, v117, s10, -v66
	v_fmac_f32_e32 v66, 0x3d64c772, v40
	v_fma_f32 v73, v73, s2, -v39
	v_mul_f32_e32 v67, 0x3f4a47b2, v120
	v_mul_f32_e32 v120, 0x3d64c772, v41
	;; [unrolled: 1-line block ×3, first 2 shown]
	v_fma_f32 v72, v72, s2, -v38
	v_add_f32_e32 v40, v66, v123
	v_add_f32_e32 v66, v77, v123
	v_fmac_f32_e32 v73, 0x3ee1c552, v83
	s_movk_i32 s2, 0x43
	v_fma_f32 v119, v118, s3, -v120
	v_sub_f32_e32 v126, v66, v73
	v_add_f32_e32 v130, v73, v66
	v_mov_b32_e32 v66, 0x1dc
	v_cmp_lt_u16_e64 s[2:3], s2, v147
	v_cndmask_b32_e64 v66, 0, v66, s[2:3]
	v_add_lshl_u32 v132, v78, v66, 3
	ds_write2_b64 v132, v[42:43], v[44:45] offset1:68
	ds_write2_b64 v132, v[46:47], v[48:49] offset0:136 offset1:204
	v_add_u32_e32 v42, 0x800, v132
	v_fma_f32 v118, v118, s10, -v67
	v_fmac_f32_e32 v67, 0x3d64c772, v41
	v_fmac_f32_e32 v38, 0x3eae86e6, v75
	;; [unrolled: 1-line block ×3, first 2 shown]
	v_fma_f32 v75, v75, s11, -v121
	v_fma_f32 v74, v74, s11, -v122
	ds_write2_b64 v42, v[50:51], v[52:53] offset0:16 offset1:84
	ds_write_b64 v132, v[54:55] offset:3264
	v_mul_u32_u24_e32 v42, 0x1dc, v79
	v_add_f32_e32 v41, v67, v76
	v_add_f32_e32 v67, v119, v76
	;; [unrolled: 1-line block ×4, first 2 shown]
	v_fmac_f32_e32 v38, 0x3ee1c552, v82
	v_fmac_f32_e32 v39, 0x3ee1c552, v83
	;; [unrolled: 1-line block ×5, first 2 shown]
	v_add_lshl_u32 v224, v42, v81, 3
	v_add_f32_e32 v133, v74, v77
	v_sub_f32_e32 v134, v76, v75
	v_add_f32_e32 v127, v72, v67
	v_sub_f32_e32 v131, v67, v72
	v_sub_f32_e32 v128, v77, v74
	v_add_f32_e32 v129, v75, v76
	v_sub_f32_e32 v222, v40, v39
	v_add_f32_e32 v223, v38, v41
	v_add_u32_e32 v42, 0x800, v224
	v_lshlrev_b32_e32 v125, 3, v80
	ds_write2_b64 v224, v[56:57], v[58:59] offset1:68
	ds_write2_b64 v224, v[60:61], v[62:63] offset0:136 offset1:204
	ds_write2_b64 v42, v[64:65], v[68:69] offset0:16 offset1:84
	ds_write_b64 v224, v[70:71] offset:3264
	s_and_saveexec_b64 s[2:3], vcc
	s_cbranch_execz .LBB0_11
; %bb.10:
	v_sub_f32_e32 v41, v41, v38
	v_add_f32_e32 v40, v39, v40
	v_add_u32_e32 v38, 0x2800, v125
	ds_write2_b64 v38, v[36:37], v[40:41] offset0:148 offset1:216
	v_add_u32_e32 v36, 0x3000, v125
	ds_write2_b64 v36, v[133:134], v[126:127] offset0:28 offset1:96
	ds_write2_b64 v36, v[130:131], v[128:129] offset0:164 offset1:232
	ds_write_b64 v125, v[222:223] offset:14688
.LBB0_11:
	s_or_b64 exec, exec, s[2:3]
	v_mad_u64_u32 v[52:53], s[2:3], v147, 24, s[8:9]
	s_movk_i32 s2, 0x1980
	s_movk_i32 s18, 0x1000
	v_add_co_u32_e64 v44, s[2:3], s2, v52
	v_addc_co_u32_e64 v45, s[2:3], 0, v53, s[2:3]
	v_add_co_u32_e64 v46, s[2:3], s18, v52
	v_addc_co_u32_e64 v47, s[2:3], 0, v53, s[2:3]
	s_movk_i32 s17, 0x2000
	v_add_co_u32_e64 v48, s[2:3], s17, v52
	s_movk_i32 s8, 0x24a8
	v_addc_co_u32_e64 v49, s[2:3], 0, v53, s[2:3]
	v_add_co_u32_e64 v50, s[2:3], s8, v52
	s_waitcnt lgkmcnt(0)
	s_barrier
	global_load_dwordx2 v[117:118], v[52:53], off offset:3688
	global_load_dwordx4 v[36:39], v[52:53], off offset:3672
	v_addc_co_u32_e64 v51, s[2:3], 0, v53, s[2:3]
	s_movk_i32 s2, 0x2fd0
	global_load_dwordx4 v[40:43], v[46:47], off offset:2432
	global_load_dwordx2 v[119:120], v[44:45], off offset:16
	v_add_co_u32_e64 v52, s[2:3], s2, v52
	global_load_dwordx4 v[44:47], v[48:49], off offset:1192
	global_load_dwordx2 v[121:122], v[50:51], off offset:16
	s_nop 0
	global_load_dwordx4 v[48:51], v[48:49], off offset:4048
	v_addc_co_u32_e64 v53, s[2:3], 0, v53, s[2:3]
	global_load_dwordx2 v[123:124], v[52:53], off offset:16
	v_add_u32_e32 v139, 0xc00, v149
	ds_read2_b64 v[58:61], v149 offset1:119
	v_add_u32_e32 v140, 0x1c00, v149
	v_add_u32_e32 v141, 0x2c00, v149
	;; [unrolled: 1-line block ×6, first 2 shown]
	ds_read2_b64 v[52:55], v139 offset0:92 offset1:211
	ds_read2_b64 v[62:65], v140 offset0:56 offset1:175
	ds_read2_b64 v[66:69], v141 offset0:20 offset1:139
	ds_read2_b64 v[74:77], v142 offset0:110 offset1:229
	ds_read2_b64 v[70:73], v143 offset0:74 offset1:193
	ds_read2_b64 v[78:81], v144 offset0:38 offset1:157
	ds_read2_b64 v[135:138], v145 offset0:130 offset1:249
	s_movk_i32 s16, 0x3000
	s_waitcnt vmcnt(7) lgkmcnt(4)
	v_mul_f32_e32 v146, v67, v118
	s_waitcnt vmcnt(6)
	v_mul_f32_e32 v57, v52, v37
	v_mul_f32_e32 v82, v63, v39
	;; [unrolled: 1-line block ×4, first 2 shown]
	v_fmac_f32_e32 v57, v53, v36
	v_fma_f32 v53, v62, v38, -v82
	s_waitcnt vmcnt(5)
	v_mul_f32_e32 v62, v55, v41
	v_mul_f32_e32 v150, v66, v118
	v_fma_f32 v52, v52, v36, -v56
	v_fmac_f32_e32 v83, v63, v38
	v_fma_f32 v56, v66, v117, -v146
	v_mul_f32_e32 v63, v54, v41
	s_waitcnt vmcnt(4)
	v_mul_f32_e32 v146, v68, v120
	s_waitcnt vmcnt(3) lgkmcnt(1)
	v_mul_f32_e32 v153, v79, v47
	v_fma_f32 v62, v54, v40, -v62
	s_waitcnt vmcnt(1)
	v_mul_f32_e32 v54, v73, v49
	v_fmac_f32_e32 v150, v67, v117
	v_mul_f32_e32 v67, v64, v43
	v_mul_f32_e32 v82, v69, v120
	;; [unrolled: 1-line block ×3, first 2 shown]
	v_fmac_f32_e32 v146, v69, v119
	v_fma_f32 v69, v78, v46, -v153
	v_fma_f32 v78, v72, v48, -v54
	v_mul_f32_e32 v54, v81, v51
	v_mul_f32_e32 v66, v65, v43
	v_fmac_f32_e32 v67, v65, v42
	v_fma_f32 v65, v68, v119, -v82
	v_fma_f32 v82, v80, v50, -v54
	v_mul_f32_e32 v80, v80, v51
	s_waitcnt vmcnt(0) lgkmcnt(0)
	v_mul_f32_e32 v54, v138, v124
	v_fmac_f32_e32 v63, v55, v40
	v_fmac_f32_e32 v80, v81, v50
	v_fma_f32 v81, v137, v123, -v54
	v_sub_f32_e32 v54, v58, v53
	v_sub_f32_e32 v55, v59, v83
	v_fma_f32 v64, v64, v42, -v66
	v_fma_f32 v53, v58, 2.0, -v54
	v_fma_f32 v58, v59, 2.0, -v55
	v_sub_f32_e32 v59, v52, v56
	v_sub_f32_e32 v66, v57, v150
	v_mul_f32_e32 v152, v70, v45
	v_fma_f32 v52, v52, 2.0, -v59
	v_fma_f32 v57, v57, 2.0, -v66
	v_mul_f32_e32 v151, v71, v45
	v_mul_f32_e32 v155, v136, v122
	v_fmac_f32_e32 v152, v71, v44
	v_fmac_f32_e32 v154, v79, v46
	v_mul_f32_e32 v71, v135, v122
	v_mul_f32_e32 v79, v72, v49
	v_sub_f32_e32 v56, v53, v52
	v_sub_f32_e32 v57, v58, v57
	v_fma_f32 v68, v70, v44, -v151
	v_fma_f32 v70, v135, v121, -v155
	v_fmac_f32_e32 v71, v136, v121
	v_fmac_f32_e32 v79, v73, v48
	v_fma_f32 v52, v53, 2.0, -v56
	v_fma_f32 v53, v58, 2.0, -v57
	v_sub_f32_e32 v58, v54, v66
	v_sub_f32_e32 v73, v61, v67
	;; [unrolled: 1-line block ×5, first 2 shown]
	v_fma_f32 v61, v61, 2.0, -v73
	v_fma_f32 v62, v62, 2.0, -v67
	;; [unrolled: 1-line block ×3, first 2 shown]
	v_add_f32_e32 v67, v73, v67
	v_sub_f32_e32 v83, v74, v69
	v_sub_f32_e32 v136, v75, v154
	;; [unrolled: 1-line block ×4, first 2 shown]
	v_fma_f32 v60, v60, 2.0, -v72
	v_sub_f32_e32 v65, v61, v63
	v_sub_f32_e32 v66, v72, v66
	v_fma_f32 v63, v73, 2.0, -v67
	v_fma_f32 v69, v74, 2.0, -v83
	;; [unrolled: 1-line block ×5, first 2 shown]
	v_mul_f32_e32 v135, v137, v124
	v_sub_f32_e32 v64, v60, v62
	v_fma_f32 v62, v72, 2.0, -v66
	v_sub_f32_e32 v72, v69, v68
	v_sub_f32_e32 v73, v74, v73
	v_fmac_f32_e32 v135, v138, v123
	v_fma_f32 v68, v69, 2.0, -v72
	v_fma_f32 v69, v74, 2.0, -v73
	v_sub_f32_e32 v74, v83, v71
	v_add_f32_e32 v75, v136, v70
	v_fma_f32 v70, v83, 2.0, -v74
	v_fma_f32 v71, v136, 2.0, -v75
	v_sub_f32_e32 v136, v76, v82
	v_sub_f32_e32 v137, v77, v80
	;; [unrolled: 1-line block ×4, first 2 shown]
	v_fma_f32 v76, v76, 2.0, -v136
	v_fma_f32 v77, v77, 2.0, -v137
	;; [unrolled: 1-line block ×4, first 2 shown]
	v_add_f32_e32 v59, v55, v59
	v_sub_f32_e32 v80, v76, v78
	v_sub_f32_e32 v81, v77, v79
	;; [unrolled: 1-line block ×3, first 2 shown]
	v_add_f32_e32 v83, v137, v83
	v_fma_f32 v54, v54, 2.0, -v58
	v_fma_f32 v55, v55, 2.0, -v59
	;; [unrolled: 1-line block ×8, first 2 shown]
	ds_write2_b64 v149, v[52:53], v[60:61] offset1:119
	ds_write2_b64 v139, v[54:55], v[62:63] offset0:92 offset1:211
	ds_write2_b64 v140, v[56:57], v[64:65] offset0:56 offset1:175
	;; [unrolled: 1-line block ×7, first 2 shown]
	s_waitcnt lgkmcnt(0)
	s_barrier
	s_and_saveexec_b64 s[8:9], s[0:1]
	s_cbranch_execz .LBB0_13
; %bb.12:
	s_add_u32 s10, s12, 0x3b80
	s_addc_u32 s11, s13, 0
	global_load_dwordx2 v[135:136], v213, s[10:11]
	v_mov_b32_e32 v137, s11
	v_add_co_u32_e64 v141, s[2:3], s10, v213
	v_addc_co_u32_e64 v142, s[2:3], 0, v137, s[2:3]
	v_add_co_u32_e64 v137, s[2:3], s18, v141
	v_addc_co_u32_e64 v138, s[2:3], 0, v142, s[2:3]
	global_load_dwordx2 v[169:170], v213, s[10:11] offset:896
	global_load_dwordx2 v[171:172], v213, s[10:11] offset:1792
	;; [unrolled: 1-line block ×4, first 2 shown]
	global_load_dwordx2 v[177:178], v[137:138], off offset:384
	global_load_dwordx2 v[179:180], v[137:138], off offset:1280
	;; [unrolled: 1-line block ×3, first 2 shown]
	v_or_b32_e32 v139, 0x1c00, v213
	global_load_dwordx2 v[183:184], v139, s[10:11]
	global_load_dwordx2 v[185:186], v[137:138], off offset:3968
	v_add_co_u32_e64 v137, s[2:3], s17, v141
	v_addc_co_u32_e64 v138, s[2:3], 0, v142, s[2:3]
	global_load_dwordx2 v[187:188], v[137:138], off offset:768
	global_load_dwordx2 v[189:190], v[137:138], off offset:1664
	;; [unrolled: 1-line block ×4, first 2 shown]
	v_add_co_u32_e64 v137, s[2:3], s16, v141
	v_addc_co_u32_e64 v138, s[2:3], 0, v142, s[2:3]
	global_load_dwordx2 v[195:196], v[137:138], off offset:256
	ds_read_b64 v[139:140], v149
	v_or_b32_e32 v141, 0x3800, v213
	global_load_dwordx2 v[197:198], v[137:138], off offset:1152
	global_load_dwordx2 v[199:200], v141, s[10:11]
	v_add_u32_e32 v158, 0x800, v213
	v_add_u32_e32 v159, 0x1000, v213
	v_add_u32_e32 v160, 0x1800, v213
	v_add_u32_e32 v203, 0x1c00, v213
	s_waitcnt vmcnt(16) lgkmcnt(0)
	v_mul_f32_e32 v138, v140, v136
	v_mul_f32_e32 v137, v139, v136
	v_fma_f32 v136, v139, v135, -v138
	v_fmac_f32_e32 v137, v140, v135
	ds_write_b64 v149, v[136:137]
	ds_read2_b64 v[135:138], v213 offset0:112 offset1:224
	ds_read2_b64 v[139:142], v158 offset0:80 offset1:192
	;; [unrolled: 1-line block ×5, first 2 shown]
	s_waitcnt vmcnt(15) lgkmcnt(4)
	v_mul_f32_e32 v201, v136, v170
	v_mul_f32_e32 v202, v135, v170
	s_waitcnt vmcnt(14)
	v_mul_f32_e32 v204, v138, v172
	v_mul_f32_e32 v170, v137, v172
	s_waitcnt vmcnt(13) lgkmcnt(3)
	v_mul_f32_e32 v205, v140, v174
	v_mul_f32_e32 v172, v139, v174
	s_waitcnt vmcnt(12)
	v_mul_f32_e32 v206, v142, v176
	v_mul_f32_e32 v174, v141, v176
	;; [unrolled: 6-line block ×4, first 2 shown]
	v_fma_f32 v201, v135, v169, -v201
	v_fmac_f32_e32 v202, v136, v169
	v_fma_f32 v169, v137, v171, -v204
	v_fmac_f32_e32 v170, v138, v171
	;; [unrolled: 2-line block ×8, first 2 shown]
	ds_write2_b64 v213, v[201:202], v[169:170] offset0:112 offset1:224
	ds_write2_b64 v158, v[171:172], v[173:174] offset0:80 offset1:192
	;; [unrolled: 1-line block ×4, first 2 shown]
	v_add_u32_e32 v145, 0x2400, v213
	ds_read2_b64 v[135:138], v145 offset0:80 offset1:192
	s_waitcnt vmcnt(7) lgkmcnt(5)
	v_mul_f32_e32 v211, v155, v186
	v_mul_f32_e32 v184, v154, v186
	s_waitcnt vmcnt(6)
	v_mul_f32_e32 v139, v157, v188
	v_mul_f32_e32 v140, v156, v188
	v_fma_f32 v183, v154, v185, -v211
	v_fmac_f32_e32 v184, v155, v185
	v_fma_f32 v139, v156, v187, -v139
	v_fmac_f32_e32 v140, v157, v187
	ds_write2_b64 v203, v[183:184], v[139:140] offset0:112 offset1:224
	s_waitcnt vmcnt(5) lgkmcnt(1)
	v_mul_f32_e32 v139, v136, v190
	v_add_u32_e32 v146, 0x2c00, v213
	v_fma_f32 v143, v135, v189, -v139
	ds_read2_b64 v[139:142], v146 offset0:48 offset1:160
	v_mul_f32_e32 v144, v135, v190
	v_fmac_f32_e32 v144, v136, v189
	s_waitcnt vmcnt(4)
	v_mul_f32_e32 v135, v138, v192
	v_mul_f32_e32 v136, v137, v192
	v_fma_f32 v135, v137, v191, -v135
	v_fmac_f32_e32 v136, v138, v191
	ds_write2_b64 v145, v[143:144], v[135:136] offset0:80 offset1:192
	s_waitcnt vmcnt(3) lgkmcnt(1)
	v_mul_f32_e32 v135, v140, v194
	v_add_u32_e32 v145, 0x3400, v213
	v_fma_f32 v143, v139, v193, -v135
	ds_read2_b64 v[135:138], v145 offset0:16 offset1:128
	v_mul_f32_e32 v144, v139, v194
	v_fmac_f32_e32 v144, v140, v193
	s_waitcnt vmcnt(2)
	v_mul_f32_e32 v139, v142, v196
	v_mul_f32_e32 v140, v141, v196
	v_fma_f32 v139, v141, v195, -v139
	v_fmac_f32_e32 v140, v142, v195
	ds_write2_b64 v146, v[143:144], v[139:140] offset0:48 offset1:160
	s_waitcnt vmcnt(1) lgkmcnt(1)
	v_mul_f32_e32 v139, v136, v198
	v_mul_f32_e32 v140, v135, v198
	v_fma_f32 v139, v135, v197, -v139
	v_fmac_f32_e32 v140, v136, v197
	s_waitcnt vmcnt(0)
	v_mul_f32_e32 v135, v138, v200
	v_mul_f32_e32 v136, v137, v200
	v_fma_f32 v135, v137, v199, -v135
	v_fmac_f32_e32 v136, v138, v199
	ds_write2_b64 v145, v[139:140], v[135:136] offset0:16 offset1:128
.LBB0_13:
	s_or_b64 exec, exec, s[8:9]
	s_waitcnt lgkmcnt(0)
	s_barrier
	s_and_saveexec_b64 s[2:3], s[0:1]
	s_cbranch_execz .LBB0_15
; %bb.14:
	v_add_u32_e32 v56, 0x400, v149
	v_add_u32_e32 v60, 0xc00, v149
	;; [unrolled: 1-line block ×7, first 2 shown]
	ds_read2_b64 v[52:55], v149 offset1:112
	ds_read2_b64 v[56:59], v56 offset0:96 offset1:208
	ds_read2_b64 v[60:63], v60 offset0:64 offset1:176
	;; [unrolled: 1-line block ×7, first 2 shown]
	ds_read_b64 v[133:134], v149 offset:14336
.LBB0_15:
	s_or_b64 exec, exec, s[2:3]
	s_waitcnt lgkmcnt(0)
	v_sub_f32_e32 v249, v55, v134
	v_add_f32_e32 v175, v133, v54
	v_add_f32_e32 v181, v134, v55
	s_mov_b32 s8, 0x3f6eb680
	v_mul_f32_e32 v84, 0xbeb8f4ab, v249
	v_sub_f32_e32 v250, v57, v83
	v_mul_f32_e32 v139, 0x3f6eb680, v181
	v_fma_f32 v135, v175, s8, -v84
	v_add_f32_e32 v178, v82, v56
	v_add_f32_e32 v186, v83, v57
	s_mov_b32 s9, 0x3f3d2fb0
	v_mul_f32_e32 v138, 0xbf2c7751, v250
	v_sub_f32_e32 v253, v54, v133
	v_add_f32_e32 v135, v52, v135
	v_mov_b32_e32 v136, v139
	v_mul_f32_e32 v141, 0x3f3d2fb0, v186
	v_fma_f32 v137, v178, s9, -v138
	v_fmac_f32_e32 v136, 0xbeb8f4ab, v253
	v_sub_f32_e32 v255, v56, v82
	v_add_f32_e32 v135, v137, v135
	v_mov_b32_e32 v137, v141
	v_sub_f32_e32 v251, v59, v81
	v_add_f32_e32 v136, v53, v136
	v_fmac_f32_e32 v137, 0xbf2c7751, v255
	v_add_f32_e32 v182, v80, v58
	v_add_f32_e32 v190, v81, v59
	s_mov_b32 s10, 0x3ee437d1
	v_mul_f32_e32 v140, 0xbf65296c, v251
	v_add_f32_e32 v136, v137, v136
	v_mul_f32_e32 v143, 0x3ee437d1, v190
	v_fma_f32 v137, v182, s10, -v140
	v_sub_f32_e32 v151, v58, v80
	v_add_f32_e32 v135, v137, v135
	v_mov_b32_e32 v137, v143
	v_sub_f32_e32 v252, v61, v79
	v_fmac_f32_e32 v137, 0xbf65296c, v151
	v_add_f32_e32 v185, v78, v60
	v_add_f32_e32 v193, v79, v61
	s_mov_b32 s11, 0x3dbcf732
	v_mul_f32_e32 v142, 0xbf7ee86f, v252
	v_add_f32_e32 v136, v137, v136
	v_mul_f32_e32 v145, 0x3dbcf732, v193
	v_fma_f32 v137, v185, s11, -v142
	v_sub_f32_e32 v153, v60, v78
	v_add_f32_e32 v135, v137, v135
	v_mov_b32_e32 v137, v145
	v_sub_f32_e32 v254, v63, v77
	v_fmac_f32_e32 v137, 0xbf7ee86f, v153
	v_add_f32_e32 v188, v76, v62
	v_add_f32_e32 v196, v77, v63
	s_mov_b32 s16, 0xbe8c1d8e
	v_mul_f32_e32 v144, 0xbf763a35, v254
	v_add_f32_e32 v136, v137, v136
	v_mul_f32_e32 v159, 0xbe8c1d8e, v196
	v_fma_f32 v137, v188, s16, -v144
	v_sub_f32_e32 v154, v62, v76
	v_add_f32_e32 v135, v137, v135
	v_mov_b32_e32 v137, v159
	v_sub_f32_e32 v150, v65, v75
	v_fmac_f32_e32 v137, 0xbf763a35, v154
	v_add_f32_e32 v192, v74, v64
	v_add_f32_e32 v206, v75, v65
	s_mov_b32 s17, 0xbf1a4643
	v_mul_f32_e32 v146, 0xbf4c4adb, v150
	v_add_f32_e32 v136, v137, v136
	v_mul_f32_e32 v169, 0xbf1a4643, v206
	v_fma_f32 v137, v192, s17, -v146
	v_sub_f32_e32 v156, v64, v74
	v_add_f32_e32 v135, v137, v135
	v_mov_b32_e32 v137, v169
	v_sub_f32_e32 v152, v67, v73
	v_fmac_f32_e32 v137, 0xbf4c4adb, v156
	v_add_f32_e32 v195, v72, v66
	v_add_f32_e32 v207, v73, v67
	s_mov_b32 s18, 0xbf59a7d5
	v_mul_f32_e32 v160, 0xbf06c442, v152
	v_add_f32_e32 v136, v137, v136
	v_mul_f32_e32 v171, 0xbf59a7d5, v207
	v_fma_f32 v137, v195, s18, -v160
	v_sub_f32_e32 v157, v66, v72
	v_add_f32_e32 v135, v137, v135
	v_mov_b32_e32 v137, v171
	v_sub_f32_e32 v155, v69, v71
	v_fmac_f32_e32 v137, 0xbf06c442, v157
	v_add_f32_e32 v197, v70, v68
	v_add_f32_e32 v216, v71, v69
	v_mul_f32_e32 v170, 0xbe3c28d5, v155
	v_add_f32_e32 v136, v137, v136
	v_mul_f32_e32 v172, 0xbf7ba420, v216
	v_fma_f32 v137, v197, s19, -v170
	v_sub_f32_e32 v158, v68, v70
	v_add_f32_e32 v135, v137, v135
	v_mov_b32_e32 v137, v172
	v_fmac_f32_e32 v137, 0xbe3c28d5, v158
	v_add_f32_e32 v136, v137, v136
	s_barrier
	s_and_saveexec_b64 s[2:3], s[0:1]
	s_cbranch_execz .LBB0_17
; %bb.16:
	v_mul_f32_e32 v137, 0x3f6eb680, v175
	buffer_store_dword v137, off, s[20:23], 0 offset:60 ; 4-byte Folded Spill
	v_mul_f32_e32 v137, 0xbeb8f4ab, v253
	buffer_store_dword v137, off, s[20:23], 0 offset:92 ; 4-byte Folded Spill
	;; [unrolled: 2-line block ×16, first 2 shown]
	v_mul_f32_e32 v137, 0xbf2c7751, v253
	v_mul_f32_e32 v173, 0xbf7ee86f, v255
	buffer_store_dword v137, off, s[20:23], 0 offset:144 ; 4-byte Folded Spill
	v_fmac_f32_e32 v137, 0x3f3d2fb0, v181
	buffer_store_dword v173, off, s[20:23], 0 offset:148 ; 4-byte Folded Spill
	buffer_store_dword v138, off, s[20:23], 0 offset:124 ; 4-byte Folded Spill
	v_mov_b32_e32 v138, v173
	v_add_f32_e32 v137, v53, v137
	v_fmac_f32_e32 v138, 0x3dbcf732, v186
	v_add_f32_e32 v137, v138, v137
	v_mul_f32_e32 v138, 0xbf4c4adb, v151
	buffer_store_dword v138, off, s[20:23], 0 offset:152 ; 4-byte Folded Spill
	v_fmac_f32_e32 v138, 0xbf1a4643, v190
	v_add_f32_e32 v137, v138, v137
	v_mul_f32_e32 v138, 0xbe3c28d5, v153
	buffer_store_dword v138, off, s[20:23], 0 offset:156 ; 4-byte Folded Spill
	v_fmac_f32_e32 v138, 0xbf7ba420, v193
	v_add_f32_e32 v137, v138, v137
	v_mul_f32_e32 v138, 0x3f06c442, v154
	buffer_store_dword v138, off, s[20:23], 0 offset:160 ; 4-byte Folded Spill
	v_fmac_f32_e32 v138, 0xbf59a7d5, v196
	v_add_f32_e32 v137, v138, v137
	v_mul_f32_e32 v138, 0x3f763a35, v156
	buffer_store_dword v138, off, s[20:23], 0 offset:164 ; 4-byte Folded Spill
	v_fmac_f32_e32 v138, 0xbe8c1d8e, v206
	v_add_f32_e32 v137, v138, v137
	v_mul_f32_e32 v138, 0x3f65296c, v157
	buffer_store_dword v138, off, s[20:23], 0 offset:168 ; 4-byte Folded Spill
	v_fmac_f32_e32 v138, 0x3ee437d1, v207
	v_add_f32_e32 v137, v138, v137
	v_mul_f32_e32 v138, 0x3eb8f4ab, v158
	buffer_store_dword v138, off, s[20:23], 0 offset:172 ; 4-byte Folded Spill
	v_fmac_f32_e32 v138, 0x3f6eb680, v216
	v_mul_f32_e32 v225, 0xbf2c7751, v249
	v_add_f32_e32 v138, v138, v137
	v_fma_f32 v137, v175, s9, -v225
	v_mul_f32_e32 v226, 0xbf7ee86f, v250
	v_add_f32_e32 v137, v52, v137
	buffer_store_dword v139, off, s[20:23], 0 offset:136 ; 4-byte Folded Spill
	v_fma_f32 v139, v178, s11, -v226
	v_mul_f32_e32 v227, 0xbf4c4adb, v251
	v_add_f32_e32 v137, v139, v137
	v_fma_f32 v139, v182, s17, -v227
	v_mul_f32_e32 v228, 0xbe3c28d5, v252
	v_add_f32_e32 v137, v139, v137
	;; [unrolled: 3-line block ×6, first 2 shown]
	v_fma_f32 v139, v197, s8, -v232
	v_add_f32_e32 v137, v139, v137
	buffer_store_dword v137, off, s[20:23], 0 offset:52 ; 4-byte Folded Spill
	s_nop 0
	buffer_store_dword v138, off, s[20:23], 0 offset:56 ; 4-byte Folded Spill
	v_mul_f32_e32 v139, 0xbf65296c, v253
	v_mul_f32_e32 v137, 0xbf4c4adb, v255
	buffer_store_dword v139, off, s[20:23], 0 offset:204 ; 4-byte Folded Spill
	v_fmac_f32_e32 v139, 0x3ee437d1, v181
	buffer_store_dword v137, off, s[20:23], 0 offset:208 ; 4-byte Folded Spill
	buffer_store_dword v140, off, s[20:23], 0 offset:140 ; 4-byte Folded Spill
	v_mov_b32_e32 v140, v137
	v_add_f32_e32 v139, v53, v139
	v_fmac_f32_e32 v140, 0xbf1a4643, v186
	v_add_f32_e32 v139, v140, v139
	v_mul_f32_e32 v140, 0x3e3c28d5, v151
	buffer_store_dword v140, off, s[20:23], 0 offset:212 ; 4-byte Folded Spill
	v_fmac_f32_e32 v140, 0xbf7ba420, v190
	v_add_f32_e32 v139, v140, v139
	v_mul_f32_e32 v140, 0x3f763a35, v153
	buffer_store_dword v140, off, s[20:23], 0 offset:224 ; 4-byte Folded Spill
	;; [unrolled: 4-line block ×6, first 2 shown]
	v_fmac_f32_e32 v140, 0xbf59a7d5, v216
	v_mul_f32_e32 v241, 0xbf65296c, v249
	v_add_f32_e32 v138, v140, v139
	v_fma_f32 v139, v175, s10, -v241
	v_mul_f32_e32 v242, 0xbf4c4adb, v250
	v_add_f32_e32 v139, v52, v139
	buffer_store_dword v141, off, s[20:23], 0 offset:184 ; 4-byte Folded Spill
	v_fma_f32 v141, v178, s17, -v242
	v_mul_f32_e32 v243, 0x3e3c28d5, v251
	v_add_f32_e32 v139, v141, v139
	v_fma_f32 v141, v182, s19, -v243
	v_mul_f32_e32 v244, 0x3f763a35, v252
	v_add_f32_e32 v139, v141, v139
	;; [unrolled: 3-line block ×6, first 2 shown]
	v_fma_f32 v141, v197, s18, -v248
	v_add_f32_e32 v137, v141, v139
	buffer_store_dword v137, off, s[20:23], 0 offset:128 ; 4-byte Folded Spill
	s_nop 0
	buffer_store_dword v138, off, s[20:23], 0 offset:132 ; 4-byte Folded Spill
	v_mul_f32_e32 v141, 0xbf7ee86f, v253
	v_mul_f32_e32 v137, 0xbe3c28d5, v255
	buffer_store_dword v141, off, s[20:23], 0 offset:264 ; 4-byte Folded Spill
	v_fmac_f32_e32 v141, 0x3dbcf732, v181
	buffer_store_dword v137, off, s[20:23], 0 offset:268 ; 4-byte Folded Spill
	buffer_store_dword v142, off, s[20:23], 0 offset:188 ; 4-byte Folded Spill
	v_mov_b32_e32 v142, v137
	v_add_f32_e32 v141, v53, v141
	v_fmac_f32_e32 v142, 0xbf7ba420, v186
	v_add_f32_e32 v141, v142, v141
	v_mul_f32_e32 v142, 0x3f763a35, v151
	buffer_store_dword v142, off, s[20:23], 0 offset:272 ; 4-byte Folded Spill
	v_fmac_f32_e32 v142, 0xbe8c1d8e, v190
	v_add_f32_e32 v141, v142, v141
	v_mul_f32_e32 v142, 0x3eb8f4ab, v153
	buffer_store_dword v142, off, s[20:23], 0 offset:276 ; 4-byte Folded Spill
	;; [unrolled: 4-line block ×5, first 2 shown]
	v_fmac_f32_e32 v142, 0xbf1a4643, v207
	v_mul_f32_e32 v233, 0x3f2c7751, v158
	v_add_f32_e32 v141, v142, v141
	v_mov_b32_e32 v142, v233
	v_fmac_f32_e32 v142, 0x3f3d2fb0, v216
	buffer_store_dword v214, off, s[20:23], 0 offset:4 ; 4-byte Folded Spill
	v_mul_f32_e32 v214, 0xbf7ee86f, v249
	v_add_f32_e32 v138, v142, v141
	v_fma_f32 v141, v175, s11, -v214
	buffer_store_dword v215, off, s[20:23], 0 offset:8 ; 4-byte Folded Spill
	v_mul_f32_e32 v215, 0xbe3c28d5, v250
	v_add_f32_e32 v141, v52, v141
	buffer_store_dword v143, off, s[20:23], 0 offset:220 ; 4-byte Folded Spill
	v_fma_f32 v143, v178, s19, -v215
	buffer_store_dword v84, off, s[20:23], 0 offset:200 ; 4-byte Folded Spill
	v_mul_f32_e32 v84, 0x3f763a35, v251
	v_add_f32_e32 v141, v143, v141
	v_fma_f32 v143, v182, s16, -v84
	buffer_store_dword v169, off, s[20:23], 0 offset:216 ; 4-byte Folded Spill
	v_mul_f32_e32 v169, 0x3eb8f4ab, v252
	v_add_f32_e32 v141, v143, v141
	v_fma_f32 v143, v185, s8, -v169
	v_mul_f32_e32 v202, 0xbf65296c, v254
	v_add_f32_e32 v141, v143, v141
	v_fma_f32 v143, v188, s10, -v202
	;; [unrolled: 3-line block ×5, first 2 shown]
	v_add_f32_e32 v137, v143, v141
	buffer_store_dword v167, off, s[20:23], 0 ; 4-byte Folded Spill
	buffer_store_dword v137, off, s[20:23], 0 offset:176 ; 4-byte Folded Spill
	s_nop 0
	buffer_store_dword v138, off, s[20:23], 0 offset:180 ; 4-byte Folded Spill
	v_mul_f32_e32 v137, 0xbf763a35, v253
	v_mov_b32_e32 v138, v137
	v_mul_f32_e32 v198, 0x3f06c442, v255
	v_fmac_f32_e32 v138, 0xbe8c1d8e, v181
	v_mov_b32_e32 v143, v198
	v_add_f32_e32 v138, v53, v138
	v_fmac_f32_e32 v143, 0xbf59a7d5, v186
	v_mul_f32_e32 v201, 0x3f2c7751, v151
	v_add_f32_e32 v138, v143, v138
	v_mov_b32_e32 v143, v201
	v_fmac_f32_e32 v143, 0x3f3d2fb0, v190
	buffer_store_dword v132, off, s[20:23], 0 offset:44 ; 4-byte Folded Spill
	v_mul_f32_e32 v132, 0xbf65296c, v153
	v_add_f32_e32 v138, v143, v138
	v_mov_b32_e32 v143, v132
	buffer_store_dword v130, off, s[20:23], 0 offset:28 ; 4-byte Folded Spill
	s_nop 0
	buffer_store_dword v131, off, s[20:23], 0 offset:32 ; 4-byte Folded Spill
	v_fmac_f32_e32 v143, 0x3ee437d1, v193
	v_mul_f32_e32 v130, 0xbe3c28d5, v154
	v_add_f32_e32 v138, v143, v138
	v_mov_b32_e32 v143, v130
	v_fmac_f32_e32 v143, 0xbf7ba420, v196
	v_mul_f32_e32 v210, 0x3f7ee86f, v156
	v_add_f32_e32 v138, v143, v138
	v_mov_b32_e32 v143, v210
	;; [unrolled: 4-line block ×4, first 2 shown]
	v_fmac_f32_e32 v143, 0xbf1a4643, v216
	v_add_f32_e32 v141, v143, v138
	v_mul_f32_e32 v138, 0xbf763a35, v249
	v_fma_f32 v143, v175, s16, -v138
	buffer_store_dword v218, off, s[20:23], 0 offset:24 ; 4-byte Folded Spill
	v_mul_f32_e32 v218, 0x3f06c442, v250
	v_add_f32_e32 v143, v52, v143
	buffer_store_dword v145, off, s[20:23], 0 offset:252 ; 4-byte Folded Spill
	v_fma_f32 v145, v178, s18, -v218
	buffer_store_dword v219, off, s[20:23], 0 offset:12 ; 4-byte Folded Spill
	v_mul_f32_e32 v219, 0x3f2c7751, v251
	v_add_f32_e32 v143, v145, v143
	v_fma_f32 v145, v182, s9, -v219
	buffer_store_dword v220, off, s[20:23], 0 offset:16 ; 4-byte Folded Spill
	v_mul_f32_e32 v220, 0xbf65296c, v252
	v_add_f32_e32 v143, v145, v143
	v_fma_f32 v145, v185, s10, -v220
	buffer_store_dword v221, off, s[20:23], 0 offset:20 ; 4-byte Folded Spill
	v_mul_f32_e32 v221, 0xbe3c28d5, v254
	buffer_store_dword v222, off, s[20:23], 0 offset:36 ; 4-byte Folded Spill
	s_nop 0
	buffer_store_dword v223, off, s[20:23], 0 offset:40 ; 4-byte Folded Spill
	v_add_f32_e32 v143, v145, v143
	v_fma_f32 v145, v188, s19, -v221
	v_mul_f32_e32 v222, 0x3f7ee86f, v150
	v_add_f32_e32 v143, v145, v143
	v_fma_f32 v145, v192, s11, -v222
	v_mul_f32_e32 v223, 0xbeb8f4ab, v152
	v_add_f32_e32 v143, v145, v143
	v_fma_f32 v145, v195, s8, -v223
	buffer_store_dword v224, off, s[20:23], 0 offset:48 ; 4-byte Folded Spill
	v_mul_f32_e32 v224, 0xbf4c4adb, v155
	v_add_f32_e32 v143, v145, v143
	v_fma_f32 v145, v197, s17, -v224
	v_mul_f32_e32 v200, 0xbf4c4adb, v253
	v_add_f32_e32 v140, v145, v143
	v_mov_b32_e32 v145, v200
	v_mul_f32_e32 v199, 0x3f763a35, v255
	buffer_store_dword v140, off, s[20:23], 0 offset:192 ; 4-byte Folded Spill
	s_nop 0
	buffer_store_dword v141, off, s[20:23], 0 offset:196 ; 4-byte Folded Spill
	v_fmac_f32_e32 v145, 0xbf1a4643, v181
	buffer_store_dword v146, off, s[20:23], 0 offset:256 ; 4-byte Folded Spill
	v_mov_b32_e32 v146, v199
	v_add_f32_e32 v145, v53, v145
	v_fmac_f32_e32 v146, 0xbe8c1d8e, v186
	v_mul_f32_e32 v235, 0xbeb8f4ab, v151
	v_add_f32_e32 v145, v146, v145
	v_mov_b32_e32 v146, v235
	v_fmac_f32_e32 v146, 0x3f6eb680, v190
	v_mul_f32_e32 v236, 0xbf06c442, v153
	v_add_f32_e32 v145, v146, v145
	v_mov_b32_e32 v146, v236
	;; [unrolled: 4-line block ×6, first 2 shown]
	v_fmac_f32_e32 v146, 0x3ee437d1, v216
	buffer_store_dword v170, off, s[20:23], 0 offset:260 ; 4-byte Folded Spill
	v_mul_f32_e32 v170, 0xbf4c4adb, v249
	v_add_f32_e32 v141, v146, v145
	v_fma_f32 v145, v175, s17, -v170
	buffer_store_dword v172, off, s[20:23], 0 offset:288 ; 4-byte Folded Spill
	v_mul_f32_e32 v172, 0x3f763a35, v250
	v_add_f32_e32 v145, v52, v145
	buffer_store_dword v159, off, s[20:23], 0 offset:300 ; 4-byte Folded Spill
	v_fma_f32 v159, v178, s16, -v172
	buffer_store_dword v171, off, s[20:23], 0 offset:296 ; 4-byte Folded Spill
	v_mul_f32_e32 v171, 0xbeb8f4ab, v251
	v_add_f32_e32 v145, v159, v145
	v_fma_f32 v159, v182, s8, -v171
	v_mul_f32_e32 v174, 0xbf06c442, v252
	v_add_f32_e32 v145, v159, v145
	v_fma_f32 v159, v185, s18, -v174
	;; [unrolled: 3-line block ×6, first 2 shown]
	v_mul_f32_e32 v179, 0xbf06c442, v253
	v_add_f32_e32 v140, v159, v145
	v_mov_b32_e32 v159, v179
	v_mul_f32_e32 v184, 0x3f65296c, v255
	buffer_store_dword v140, off, s[20:23], 0 offset:244 ; 4-byte Folded Spill
	s_nop 0
	buffer_store_dword v141, off, s[20:23], 0 offset:248 ; 4-byte Folded Spill
	v_fmac_f32_e32 v159, 0xbf59a7d5, v181
	buffer_store_dword v160, off, s[20:23], 0 offset:304 ; 4-byte Folded Spill
	v_mov_b32_e32 v160, v184
	v_mul_f32_e32 v183, 0xbf7ee86f, v151
	v_add_f32_e32 v159, v53, v159
	v_fmac_f32_e32 v160, 0x3ee437d1, v186
	v_mov_b32_e32 v140, v183
	v_add_f32_e32 v159, v160, v159
	v_fmac_f32_e32 v140, 0x3dbcf732, v190
	v_mov_b32_e32 v194, v161
	v_mul_f32_e32 v161, 0x3f4c4adb, v153
	v_add_f32_e32 v140, v140, v159
	v_mov_b32_e32 v159, v161
	v_fmac_f32_e32 v159, 0xbf1a4643, v193
	v_mul_f32_e32 v189, 0xbeb8f4ab, v154
	v_add_f32_e32 v140, v159, v140
	v_mov_b32_e32 v159, v189
	v_mov_b32_e32 v209, v129
	v_fmac_f32_e32 v159, 0x3f6eb680, v196
	v_mov_b32_e32 v208, v128
	v_mov_b32_e32 v128, v168
	;; [unrolled: 1-line block ×3, first 2 shown]
	v_mul_f32_e32 v162, 0xbe3c28d5, v156
	v_add_f32_e32 v140, v159, v140
	v_mov_b32_e32 v159, v162
	v_fmac_f32_e32 v159, 0xbf7ba420, v206
	v_mov_b32_e32 v131, v125
	v_mov_b32_e32 v125, v213
	;; [unrolled: 1-line block ×3, first 2 shown]
	v_mul_f32_e32 v163, 0x3f2c7751, v157
	v_add_f32_e32 v140, v159, v140
	v_mov_b32_e32 v159, v163
	v_fmac_f32_e32 v159, 0x3f3d2fb0, v207
	v_mul_f32_e32 v187, 0xbf763a35, v158
	v_add_f32_e32 v140, v159, v140
	v_mov_b32_e32 v159, v187
	v_fmac_f32_e32 v159, 0xbe8c1d8e, v216
	v_add_f32_e32 v160, v159, v140
	v_mul_f32_e32 v140, 0xbf06c442, v249
	v_fma_f32 v159, v175, s18, -v140
	v_mov_b32_e32 v129, v217
	v_mov_b32_e32 v217, v148
	v_mov_b32_e32 v148, v147
	v_mov_b32_e32 v147, v164
	v_mul_f32_e32 v164, 0x3f65296c, v250
	v_add_f32_e32 v159, v52, v159
	v_fma_f32 v141, v178, s10, -v164
	v_mul_f32_e32 v142, 0xbf7ee86f, v251
	v_add_f32_e32 v141, v141, v159
	v_fma_f32 v159, v182, s11, -v142
	v_mul_f32_e32 v191, 0x3f4c4adb, v252
	v_mov_b32_e32 v146, v127
	v_add_f32_e32 v141, v159, v141
	v_fma_f32 v159, v185, s17, -v191
	v_mov_b32_e32 v145, v126
	v_mov_b32_e32 v126, v165
	v_mul_f32_e32 v165, 0xbeb8f4ab, v254
	v_add_f32_e32 v141, v159, v141
	v_fma_f32 v159, v188, s8, -v165
	v_mov_b32_e32 v127, v166
	v_mul_f32_e32 v166, 0xbe3c28d5, v150
	v_mov_b32_e32 v167, v212
	v_add_f32_e32 v141, v159, v141
	v_fma_f32 v159, v192, s19, -v166
	v_mul_f32_e32 v212, 0x3f2c7751, v152
	v_add_f32_e32 v141, v159, v141
	v_fma_f32 v143, v195, s9, -v212
	v_add_f32_e32 v141, v143, v141
	v_mul_f32_e32 v143, 0xbf763a35, v155
	v_fma_f32 v159, v197, s16, -v143
	v_add_f32_e32 v159, v159, v141
	v_mul_f32_e32 v141, 0xbe3c28d5, v253
	v_mov_b32_e32 v253, v141
	buffer_store_dword v144, off, s[20:23], 0 offset:308 ; 4-byte Folded Spill
	v_mul_f32_e32 v144, 0x3eb8f4ab, v255
	v_fmac_f32_e32 v253, 0xbf7ba420, v181
	v_mov_b32_e32 v255, v144
	v_add_f32_e32 v253, v53, v253
	v_fmac_f32_e32 v255, 0x3f6eb680, v186
	v_add_f32_e32 v253, v255, v253
	v_mul_f32_e32 v255, 0xbf06c442, v151
	v_mov_b32_e32 v151, v255
	v_fmac_f32_e32 v151, 0xbf59a7d5, v190
	v_mul_f32_e32 v153, 0x3f2c7751, v153
	v_add_f32_e32 v151, v151, v253
	v_mov_b32_e32 v253, v153
	v_fmac_f32_e32 v253, 0x3f3d2fb0, v193
	v_mul_f32_e32 v154, 0xbf4c4adb, v154
	v_add_f32_e32 v151, v253, v151
	;; [unrolled: 4-line block ×3, first 2 shown]
	v_mov_b32_e32 v253, v156
	v_fmac_f32_e32 v253, 0x3ee437d1, v206
	v_mul_f32_e32 v157, 0xbf763a35, v157
	v_fma_f32 v141, v181, s19, -v141
	v_add_f32_e32 v151, v253, v151
	v_mov_b32_e32 v253, v157
	v_add_f32_e32 v141, v53, v141
	v_fma_f32 v144, v186, s8, -v144
	v_fmac_f32_e32 v253, 0xbe8c1d8e, v207
	v_mul_f32_e32 v158, 0x3f7ee86f, v158
	v_add_f32_e32 v141, v144, v141
	v_fma_f32 v144, v190, s18, -v255
	v_add_f32_e32 v151, v253, v151
	v_mov_b32_e32 v253, v158
	v_add_f32_e32 v141, v144, v141
	v_fma_f32 v144, v193, s9, -v153
	v_fmac_f32_e32 v253, 0x3dbcf732, v216
	v_mul_f32_e32 v249, 0xbe3c28d5, v249
	v_add_f32_e32 v141, v144, v141
	v_fma_f32 v144, v196, s17, -v154
	v_add_f32_e32 v151, v253, v151
	v_fma_f32 v253, v175, s19, -v249
	v_mul_f32_e32 v250, 0x3eb8f4ab, v250
	v_add_f32_e32 v141, v144, v141
	v_fma_f32 v144, v206, s10, -v156
	v_add_f32_e32 v253, v52, v253
	v_fma_f32 v234, v178, s8, -v250
	v_mul_f32_e32 v251, 0xbf06c442, v251
	v_add_f32_e32 v141, v144, v141
	v_fma_f32 v144, v207, s16, -v157
	v_add_f32_e32 v234, v234, v253
	v_fma_f32 v253, v182, s18, -v251
	v_mul_f32_e32 v252, 0x3f2c7751, v252
	v_add_f32_e32 v141, v144, v141
	v_fma_f32 v144, v216, s11, -v158
	v_fmac_f32_e32 v249, 0xbf7ba420, v175
	v_add_f32_e32 v234, v253, v234
	v_fma_f32 v253, v185, s9, -v252
	v_add_f32_e32 v153, v144, v141
	v_add_f32_e32 v141, v52, v249
	v_fmac_f32_e32 v250, 0x3f6eb680, v178
	v_add_f32_e32 v234, v253, v234
	v_mul_f32_e32 v253, 0xbf4c4adb, v254
	v_add_f32_e32 v141, v250, v141
	v_fmac_f32_e32 v251, 0xbf59a7d5, v182
	v_fma_f32 v254, v188, s17, -v253
	v_add_f32_e32 v141, v251, v141
	v_fmac_f32_e32 v252, 0x3f3d2fb0, v185
	v_add_f32_e32 v234, v254, v234
	v_mul_f32_e32 v254, 0x3f65296c, v150
	v_add_f32_e32 v141, v252, v141
	v_fmac_f32_e32 v253, 0xbf1a4643, v188
	v_fma_f32 v150, v192, s10, -v254
	v_mul_f32_e32 v152, 0xbf763a35, v152
	v_add_f32_e32 v141, v253, v141
	v_fmac_f32_e32 v254, 0x3ee437d1, v192
	v_add_f32_e32 v150, v150, v234
	v_fma_f32 v234, v195, s16, -v152
	v_mul_f32_e32 v155, 0x3f7ee86f, v155
	v_add_f32_e32 v141, v254, v141
	v_fmac_f32_e32 v152, 0xbe8c1d8e, v195
	v_add_f32_e32 v150, v234, v150
	v_fma_f32 v234, v197, s11, -v155
	v_add_f32_e32 v141, v152, v141
	v_fmac_f32_e32 v155, 0x3dbcf732, v197
	v_fmac_f32_e32 v140, 0xbf59a7d5, v175
	v_add_f32_e32 v152, v155, v141
	v_fma_f32 v141, v181, s18, -v179
	v_add_f32_e32 v140, v52, v140
	v_fmac_f32_e32 v164, 0x3ee437d1, v178
	v_add_f32_e32 v141, v53, v141
	v_fma_f32 v144, v186, s10, -v184
	v_add_f32_e32 v140, v164, v140
	;; [unrolled: 4-line block ×8, first 2 shown]
	v_fma_f32 v140, v181, s17, -v200
	v_add_f32_e32 v155, v144, v141
	v_add_f32_e32 v140, v53, v140
	v_fma_f32 v141, v186, s16, -v199
	v_add_f32_e32 v140, v141, v140
	v_fma_f32 v141, v190, s8, -v235
	;; [unrolled: 2-line block ×7, first 2 shown]
	v_fmac_f32_e32 v170, 0xbf1a4643, v175
	v_add_f32_e32 v157, v141, v140
	v_add_f32_e32 v140, v52, v170
	v_fmac_f32_e32 v172, 0xbe8c1d8e, v178
	v_add_f32_e32 v140, v172, v140
	v_fmac_f32_e32 v171, 0x3f6eb680, v182
	;; [unrolled: 2-line block ×7, first 2 shown]
	v_fma_f32 v137, v181, s16, -v137
	v_add_f32_e32 v156, v180, v140
	v_add_f32_e32 v137, v53, v137
	v_fma_f32 v140, v186, s18, -v198
	v_add_f32_e32 v137, v140, v137
	v_fma_f32 v140, v190, s9, -v201
	;; [unrolled: 2-line block ×7, first 2 shown]
	v_fmac_f32_e32 v138, 0xbe8c1d8e, v175
	v_add_f32_e32 v250, v140, v137
	v_add_f32_e32 v137, v52, v138
	v_fmac_f32_e32 v218, 0xbf59a7d5, v178
	v_add_f32_e32 v137, v218, v137
	v_fmac_f32_e32 v219, 0x3f3d2fb0, v182
	;; [unrolled: 2-line block ×7, first 2 shown]
	v_mov_b32_e32 v163, v213
	v_mov_b32_e32 v213, v125
	;; [unrolled: 1-line block ×3, first 2 shown]
	buffer_load_dword v132, off, s[20:23], 0 offset:44 ; 4-byte Folded Reload
	buffer_load_dword v130, off, s[20:23], 0 offset:28 ; 4-byte Folded Reload
	;; [unrolled: 1-line block ×9, first 2 shown]
	v_add_f32_e32 v249, v224, v137
	buffer_load_dword v224, off, s[20:23], 0 offset:48 ; 4-byte Folded Reload
	buffer_load_dword v137, off, s[20:23], 0 offset:264 ; 4-byte Folded Reload
	;; [unrolled: 1-line block ×3, first 2 shown]
	v_fmac_f32_e32 v214, 0x3dbcf732, v175
	v_fmac_f32_e32 v215, 0xbf7ba420, v178
	;; [unrolled: 1-line block ×9, first 2 shown]
	v_add_f32_e32 v150, v234, v150
	v_fmac_f32_e32 v242, 0xbf1a4643, v178
	v_fmac_f32_e32 v243, 0xbf7ba420, v182
	;; [unrolled: 1-line block ×7, first 2 shown]
	v_mov_b32_e32 v212, v167
	buffer_load_dword v167, off, s[20:23], 0 ; 4-byte Folded Reload
	v_fmac_f32_e32 v225, 0x3f3d2fb0, v175
	v_fmac_f32_e32 v226, 0x3dbcf732, v178
	;; [unrolled: 1-line block ×8, first 2 shown]
	v_mov_b32_e32 v164, v147
	v_mov_b32_e32 v147, v148
	;; [unrolled: 1-line block ×13, first 2 shown]
	s_waitcnt vmcnt(2)
	v_fma_f32 v137, v181, s11, -v137
	v_add_f32_e32 v137, v53, v137
	s_waitcnt vmcnt(1)
	v_fma_f32 v138, v186, s19, -v138
	v_add_f32_e32 v137, v138, v137
	buffer_load_dword v138, off, s[20:23], 0 offset:272 ; 4-byte Folded Reload
	s_waitcnt vmcnt(0)
	v_fma_f32 v138, v190, s16, -v138
	v_add_f32_e32 v137, v138, v137
	buffer_load_dword v138, off, s[20:23], 0 offset:276 ; 4-byte Folded Reload
	s_waitcnt vmcnt(0)
	v_fma_f32 v138, v193, s8, -v138
	v_add_f32_e32 v137, v138, v137
	buffer_load_dword v138, off, s[20:23], 0 offset:280 ; 4-byte Folded Reload
	s_waitcnt vmcnt(0)
	v_fma_f32 v138, v196, s10, -v138
	v_add_f32_e32 v137, v138, v137
	buffer_load_dword v138, off, s[20:23], 0 offset:284 ; 4-byte Folded Reload
	s_waitcnt vmcnt(0)
	v_fma_f32 v138, v206, s18, -v138
	v_add_f32_e32 v137, v138, v137
	buffer_load_dword v138, off, s[20:23], 0 offset:292 ; 4-byte Folded Reload
	s_waitcnt vmcnt(0)
	v_fma_f32 v138, v207, s17, -v138
	v_add_f32_e32 v137, v138, v137
	v_fma_f32 v138, v216, s9, -v233
	v_add_f32_e32 v252, v138, v137
	v_add_f32_e32 v137, v52, v214
	buffer_load_dword v214, off, s[20:23], 0 offset:4 ; 4-byte Folded Reload
	v_add_f32_e32 v137, v215, v137
	buffer_load_dword v215, off, s[20:23], 0 offset:8 ; 4-byte Folded Reload
	v_add_f32_e32 v84, v84, v137
	v_add_f32_e32 v84, v169, v84
	;; [unrolled: 1-line block ×6, first 2 shown]
	buffer_load_dword v84, off, s[20:23], 0 offset:204 ; 4-byte Folded Reload
	buffer_load_dword v137, off, s[20:23], 0 offset:208 ; 4-byte Folded Reload
	s_waitcnt vmcnt(1)
	v_fma_f32 v84, v181, s10, -v84
	v_add_f32_e32 v84, v53, v84
	s_waitcnt vmcnt(0)
	v_fma_f32 v137, v186, s17, -v137
	v_add_f32_e32 v84, v137, v84
	buffer_load_dword v137, off, s[20:23], 0 offset:212 ; 4-byte Folded Reload
	s_waitcnt vmcnt(0)
	v_fma_f32 v137, v190, s19, -v137
	v_add_f32_e32 v84, v137, v84
	buffer_load_dword v137, off, s[20:23], 0 offset:224 ; 4-byte Folded Reload
	;; [unrolled: 4-line block ×6, first 2 shown]
	s_waitcnt vmcnt(0)
	v_fma_f32 v137, v216, s18, -v137
	v_add_f32_e32 v234, v137, v84
	v_add_f32_e32 v84, v52, v241
	;; [unrolled: 1-line block ×9, first 2 shown]
	buffer_load_dword v84, off, s[20:23], 0 offset:144 ; 4-byte Folded Reload
	buffer_load_dword v137, off, s[20:23], 0 offset:148 ; 4-byte Folded Reload
	s_waitcnt vmcnt(1)
	v_fma_f32 v84, v181, s9, -v84
	v_add_f32_e32 v84, v53, v84
	s_waitcnt vmcnt(0)
	v_fma_f32 v137, v186, s11, -v137
	v_add_f32_e32 v84, v137, v84
	buffer_load_dword v137, off, s[20:23], 0 offset:152 ; 4-byte Folded Reload
	s_waitcnt vmcnt(0)
	v_fma_f32 v137, v190, s17, -v137
	v_add_f32_e32 v84, v137, v84
	buffer_load_dword v137, off, s[20:23], 0 offset:156 ; 4-byte Folded Reload
	s_waitcnt vmcnt(0)
	v_fma_f32 v137, v193, s19, -v137
	v_add_f32_e32 v84, v137, v84
	buffer_load_dword v137, off, s[20:23], 0 offset:160 ; 4-byte Folded Reload
	s_waitcnt vmcnt(0)
	v_fma_f32 v137, v196, s18, -v137
	v_add_f32_e32 v84, v137, v84
	buffer_load_dword v137, off, s[20:23], 0 offset:164 ; 4-byte Folded Reload
	s_waitcnt vmcnt(0)
	v_fma_f32 v137, v206, s16, -v137
	v_add_f32_e32 v84, v137, v84
	buffer_load_dword v137, off, s[20:23], 0 offset:168 ; 4-byte Folded Reload
	s_waitcnt vmcnt(0)
	v_fma_f32 v137, v207, s10, -v137
	v_add_f32_e32 v84, v137, v84
	buffer_load_dword v137, off, s[20:23], 0 offset:172 ; 4-byte Folded Reload
	s_waitcnt vmcnt(0)
	v_fma_f32 v137, v216, s8, -v137
	v_add_f32_e32 v186, v137, v84
	v_add_f32_e32 v84, v52, v225
	;; [unrolled: 1-line block ×9, first 2 shown]
	buffer_load_dword v84, off, s[20:23], 0 offset:92 ; 4-byte Folded Reload
	buffer_load_dword v137, off, s[20:23], 0 offset:136 ; 4-byte Folded Reload
	s_waitcnt vmcnt(0)
	v_sub_f32_e32 v84, v137, v84
	buffer_load_dword v137, off, s[20:23], 0 offset:96 ; 4-byte Folded Reload
	buffer_load_dword v138, off, s[20:23], 0 offset:184 ; 4-byte Folded Reload
	v_add_f32_e32 v84, v53, v84
	v_add_f32_e32 v53, v55, v53
	v_add_f32_e32 v53, v57, v53
	v_add_f32_e32 v53, v59, v53
	v_add_f32_e32 v53, v61, v53
	v_add_f32_e32 v53, v63, v53
	v_add_f32_e32 v53, v65, v53
	v_add_f32_e32 v53, v67, v53
	v_add_f32_e32 v53, v69, v53
	v_add_f32_e32 v53, v71, v53
	v_add_f32_e32 v53, v73, v53
	v_add_f32_e32 v53, v75, v53
	v_add_f32_e32 v53, v77, v53
	v_add_f32_e32 v53, v79, v53
	v_add_f32_e32 v53, v81, v53
	v_add_f32_e32 v53, v83, v53
	v_add_f32_e32 v53, v134, v53
	s_waitcnt vmcnt(0)
	v_sub_f32_e32 v137, v138, v137
	v_add_f32_e32 v84, v137, v84
	buffer_load_dword v137, off, s[20:23], 0 offset:100 ; 4-byte Folded Reload
	buffer_load_dword v138, off, s[20:23], 0 offset:220 ; 4-byte Folded Reload
	s_waitcnt vmcnt(0)
	v_sub_f32_e32 v137, v138, v137
	v_add_f32_e32 v84, v137, v84
	buffer_load_dword v137, off, s[20:23], 0 offset:104 ; 4-byte Folded Reload
	buffer_load_dword v138, off, s[20:23], 0 offset:252 ; 4-byte Folded Reload
	;; [unrolled: 5-line block ×7, first 2 shown]
	s_waitcnt vmcnt(0)
	v_add_f32_e32 v84, v84, v137
	buffer_load_dword v137, off, s[20:23], 0 offset:64 ; 4-byte Folded Reload
	buffer_load_dword v138, off, s[20:23], 0 offset:124 ; 4-byte Folded Reload
	v_add_f32_e32 v84, v52, v84
	v_add_f32_e32 v52, v54, v52
	;; [unrolled: 1-line block ×16, first 2 shown]
	v_mul_lo_u16_e32 v54, 17, v147
	v_add_f32_e32 v52, v133, v52
	v_lshlrev_b32_e32 v54, 3, v54
	s_waitcnt vmcnt(0)
	v_add_f32_e32 v137, v137, v138
	v_add_f32_e32 v84, v137, v84
	buffer_load_dword v137, off, s[20:23], 0 offset:68 ; 4-byte Folded Reload
	buffer_load_dword v138, off, s[20:23], 0 offset:140 ; 4-byte Folded Reload
	s_waitcnt vmcnt(0)
	v_add_f32_e32 v137, v137, v138
	v_add_f32_e32 v84, v137, v84
	buffer_load_dword v137, off, s[20:23], 0 offset:72 ; 4-byte Folded Reload
	buffer_load_dword v138, off, s[20:23], 0 offset:188 ; 4-byte Folded Reload
	;; [unrolled: 5-line block ×6, first 2 shown]
	s_waitcnt vmcnt(0)
	v_add_f32_e32 v137, v137, v138
	v_add_f32_e32 v170, v137, v84
	ds_write2_b64 v54, v[52:53], v[170:171] offset1:1
	ds_write2_b64 v54, v[185:186], v[233:234] offset0:2 offset1:3
	ds_write2_b64 v54, v[251:252], v[249:250] offset0:4 offset1:5
	;; [unrolled: 1-line block ×4, first 2 shown]
	buffer_load_dword v52, off, s[20:23], 0 offset:244 ; 4-byte Folded Reload
	buffer_load_dword v53, off, s[20:23], 0 offset:248 ; 4-byte Folded Reload
	s_waitcnt vmcnt(0)
	ds_write2_b64 v54, v[159:160], v[52:53] offset0:10 offset1:11
	buffer_load_dword v52, off, s[20:23], 0 offset:176 ; 4-byte Folded Reload
	buffer_load_dword v53, off, s[20:23], 0 offset:180 ; 4-byte Folded Reload
	;; [unrolled: 1-line block ×4, first 2 shown]
	s_waitcnt vmcnt(0)
	ds_write2_b64 v54, v[55:56], v[52:53] offset0:12 offset1:13
	buffer_load_dword v52, off, s[20:23], 0 offset:52 ; 4-byte Folded Reload
	buffer_load_dword v53, off, s[20:23], 0 offset:56 ; 4-byte Folded Reload
	;; [unrolled: 1-line block ×4, first 2 shown]
	s_waitcnt vmcnt(0)
	ds_write2_b64 v54, v[55:56], v[52:53] offset0:14 offset1:15
	ds_write_b64 v54, v[135:136] offset:128
.LBB0_17:
	s_or_b64 exec, exec, s[2:3]
	v_add_u32_e32 v84, 0x1c00, v149
	s_waitcnt lgkmcnt(0)
	s_barrier
	ds_read2_b64 v[56:59], v84 offset0:56 offset1:175
	v_add_u32_e32 v134, 0x2400, v149
	ds_read2_b64 v[64:67], v134 offset0:38 offset1:157
	v_add_u32_e32 v138, 0x2c00, v149
	ds_read2_b64 v[72:75], v138 offset0:20 offset1:139
	s_waitcnt lgkmcnt(2)
	v_mul_f32_e32 v141, v92, v57
	v_add_u32_e32 v140, 0x3000, v149
	v_fmac_f32_e32 v141, v91, v56
	v_mul_f32_e32 v56, v92, v56
	ds_read2_b64 v[80:83], v140 offset0:130 offset1:249
	v_fma_f32 v57, v91, v57, -v56
	v_mul_f32_e32 v56, v90, v58
	v_mul_f32_e32 v91, v90, v59
	v_fma_f32 v59, v89, v59, -v56
	s_waitcnt lgkmcnt(2)
	v_mul_f32_e32 v56, v88, v64
	v_add_u32_e32 v133, 0x400, v149
	v_add_u32_e32 v137, 0xc00, v149
	;; [unrolled: 1-line block ×3, first 2 shown]
	v_fmac_f32_e32 v91, v89, v58
	v_mul_f32_e32 v89, v88, v65
	v_fma_f32 v65, v87, v65, -v56
	v_mul_f32_e32 v56, v86, v66
	ds_read2_b64 v[52:55], v149 offset1:119
	ds_read2_b64 v[60:63], v133 offset0:110 offset1:229
	ds_read2_b64 v[68:71], v137 offset0:92 offset1:211
	;; [unrolled: 1-line block ×3, first 2 shown]
	v_fmac_f32_e32 v89, v87, v64
	v_mul_f32_e32 v87, v86, v67
	v_fma_f32 v67, v85, v67, -v56
	s_waitcnt lgkmcnt(5)
	v_mul_f32_e32 v56, v96, v72
	v_fmac_f32_e32 v87, v85, v66
	v_mul_f32_e32 v85, v96, v73
	v_fma_f32 v73, v95, v73, -v56
	v_mul_f32_e32 v56, v94, v74
	v_mul_f32_e32 v86, v94, v75
	v_fma_f32 v75, v93, v75, -v56
	s_waitcnt lgkmcnt(4)
	v_mul_f32_e32 v56, v100, v80
	v_mul_f32_e32 v88, v100, v81
	v_fma_f32 v81, v99, v81, -v56
	v_mul_f32_e32 v90, v98, v83
	v_mul_f32_e32 v56, v98, v82
	v_fmac_f32_e32 v85, v95, v72
	v_fmac_f32_e32 v86, v93, v74
	;; [unrolled: 1-line block ×4, first 2 shown]
	v_fma_f32 v83, v97, v83, -v56
	s_waitcnt lgkmcnt(3)
	v_sub_f32_e32 v56, v52, v141
	v_sub_f32_e32 v57, v53, v57
	v_sub_f32_e32 v58, v54, v91
	v_sub_f32_e32 v59, v55, v59
	s_waitcnt lgkmcnt(2)
	v_sub_f32_e32 v64, v60, v89
	v_sub_f32_e32 v65, v61, v65
	v_sub_f32_e32 v66, v62, v87
	v_sub_f32_e32 v67, v63, v67
	;; [unrolled: 5-line block ×4, first 2 shown]
	v_fma_f32 v52, v52, 2.0, -v56
	v_fma_f32 v53, v53, 2.0, -v57
	;; [unrolled: 1-line block ×16, first 2 shown]
	s_barrier
	ds_write2_b64 v161, v[52:53], v[56:57] offset1:17
	ds_write2_b64 v162, v[54:55], v[58:59] offset1:17
	;; [unrolled: 1-line block ×8, first 2 shown]
	s_waitcnt lgkmcnt(0)
	s_barrier
	ds_read2_b64 v[52:55], v149 offset1:119
	ds_read2_b64 v[56:59], v84 offset0:56 offset1:175
	ds_read2_b64 v[60:63], v133 offset0:110 offset1:229
	ds_read2_b64 v[64:67], v134 offset0:38 offset1:157
	ds_read2_b64 v[68:71], v137 offset0:92 offset1:211
	ds_read2_b64 v[72:75], v138 offset0:20 offset1:139
	ds_read2_b64 v[76:79], v139 offset0:74 offset1:193
	ds_read2_b64 v[80:83], v140 offset0:130 offset1:249
	s_waitcnt lgkmcnt(6)
	v_mul_f32_e32 v84, v104, v57
	v_fmac_f32_e32 v84, v103, v56
	v_mul_f32_e32 v56, v104, v56
	v_fma_f32 v57, v103, v57, -v56
	v_mul_f32_e32 v56, v108, v58
	v_mul_f32_e32 v85, v108, v59
	v_fma_f32 v59, v107, v59, -v56
	s_waitcnt lgkmcnt(4)
	v_mul_f32_e32 v56, v106, v64
	v_mul_f32_e32 v86, v106, v65
	v_fma_f32 v65, v105, v65, -v56
	v_mul_f32_e32 v56, v102, v66
	v_mul_f32_e32 v87, v102, v67
	v_fma_f32 v67, v101, v67, -v56
	s_waitcnt lgkmcnt(2)
	v_mul_f32_e32 v56, v110, v72
	;; [unrolled: 7-line block ×3, first 2 shown]
	v_mul_f32_e32 v56, v116, v80
	v_fmac_f32_e32 v90, v115, v80
	v_fma_f32 v80, v115, v81, -v56
	v_mul_f32_e32 v81, v114, v83
	v_mul_f32_e32 v56, v114, v82
	v_fmac_f32_e32 v85, v107, v58
	v_fmac_f32_e32 v86, v105, v64
	;; [unrolled: 1-line block ×6, first 2 shown]
	v_fma_f32 v83, v113, v83, -v56
	v_sub_f32_e32 v56, v52, v84
	v_sub_f32_e32 v57, v53, v57
	v_fma_f32 v52, v52, 2.0, -v56
	v_fma_f32 v53, v53, 2.0, -v57
	v_sub_f32_e32 v58, v54, v85
	v_sub_f32_e32 v59, v55, v59
	;; [unrolled: 1-line block ×14, first 2 shown]
	v_fma_f32 v54, v54, 2.0, -v58
	v_fma_f32 v55, v55, 2.0, -v59
	;; [unrolled: 1-line block ×14, first 2 shown]
	s_barrier
	ds_write2_b64 v168, v[52:53], v[56:57] offset1:34
	ds_write2_b64 v214, v[54:55], v[58:59] offset1:34
	;; [unrolled: 1-line block ×8, first 2 shown]
	v_add_u32_e32 v56, 0x800, v149
	s_waitcnt lgkmcnt(0)
	s_barrier
	ds_read2_b64 v[76:79], v56 offset0:16 offset1:135
	v_add_u32_e32 v56, 0x1000, v149
	ds_read2_b64 v[72:75], v56 offset0:32 offset1:151
	v_add_u32_e32 v56, 0x1800, v149
	;; [unrolled: 2-line block ×4, first 2 shown]
	ds_read2_b64 v[52:55], v149 offset1:119
	ds_read2_b64 v[60:63], v56 offset0:80 offset1:199
	ds_read2_b64 v[56:59], v140 offset0:96 offset1:215
	s_and_saveexec_b64 s[2:3], vcc
	s_cbranch_execz .LBB0_19
; %bb.18:
	ds_read_b64 v[80:81], v149 offset:1904
	ds_read_b64 v[82:83], v149 offset:4080
	;; [unrolled: 1-line block ×7, first 2 shown]
.LBB0_19:
	s_or_b64 exec, exec, s[2:3]
	s_waitcnt lgkmcnt(6)
	v_mul_f32_e32 v84, v21, v77
	v_mul_f32_e32 v21, v21, v76
	v_fmac_f32_e32 v84, v20, v76
	v_fma_f32 v20, v20, v77, -v21
	s_waitcnt lgkmcnt(5)
	v_mul_f32_e32 v21, v23, v73
	v_mul_f32_e32 v23, v23, v72
	v_fmac_f32_e32 v21, v22, v72
	v_fma_f32 v22, v22, v73, -v23
	;; [unrolled: 5-line block ×6, first 2 shown]
	v_mul_f32_e32 v56, v33, v79
	v_mul_f32_e32 v15, v33, v78
	v_fmac_f32_e32 v56, v32, v78
	v_fma_f32 v32, v32, v79, -v15
	v_mul_f32_e32 v33, v35, v75
	v_mul_f32_e32 v15, v35, v74
	v_fmac_f32_e32 v33, v34, v74
	v_fma_f32 v34, v34, v75, -v15
	;; [unrolled: 4-line block ×4, first 2 shown]
	v_mul_f32_e32 v15, v25, v62
	v_mul_f32_e32 v31, v25, v63
	v_fma_f32 v57, v24, v63, -v15
	v_mul_f32_e32 v60, v27, v59
	v_mul_f32_e32 v15, v27, v58
	v_fmac_f32_e32 v31, v24, v62
	v_fmac_f32_e32 v60, v26, v58
	v_fma_f32 v26, v26, v59, -v15
	v_add_f32_e32 v15, v84, v13
	v_add_f32_e32 v24, v20, v14
	v_sub_f32_e32 v14, v20, v14
	v_add_f32_e32 v20, v21, v19
	v_add_f32_e32 v25, v22, v12
	v_sub_f32_e32 v19, v21, v19
	v_sub_f32_e32 v12, v22, v12
	v_add_f32_e32 v21, v23, v17
	v_add_f32_e32 v22, v16, v18
	v_sub_f32_e32 v16, v18, v16
	v_add_f32_e32 v18, v20, v15
	v_sub_f32_e32 v17, v17, v23
	v_add_f32_e32 v23, v25, v24
	v_add_f32_e32 v18, v21, v18
	v_sub_f32_e32 v13, v84, v13
	v_sub_f32_e32 v27, v20, v15
	;; [unrolled: 1-line block ×4, first 2 shown]
	v_add_f32_e32 v59, v17, v19
	v_add_f32_e32 v61, v16, v12
	v_sub_f32_e32 v63, v16, v12
	v_sub_f32_e32 v64, v12, v14
	v_add_f32_e32 v21, v22, v23
	v_add_f32_e32 v12, v52, v18
	v_sub_f32_e32 v58, v25, v24
	v_sub_f32_e32 v24, v24, v22
	;; [unrolled: 1-line block ×6, first 2 shown]
	v_add_f32_e32 v22, v59, v13
	v_add_f32_e32 v13, v53, v21
	v_mul_f32_e32 v59, 0x3f08b237, v63
	v_mov_b32_e32 v63, v12
	v_sub_f32_e32 v16, v14, v16
	v_add_f32_e32 v14, v61, v14
	v_mul_f32_e32 v15, 0x3f4a47b2, v15
	v_mul_f32_e32 v23, 0x3f4a47b2, v24
	;; [unrolled: 1-line block ×5, first 2 shown]
	s_mov_b32 s8, 0xbf5ff5aa
	v_mul_f32_e32 v61, 0xbf5ff5aa, v19
	v_fmac_f32_e32 v63, 0xbf955555, v18
	v_mov_b32_e32 v18, v13
	s_mov_b32 s9, 0x3f3bfb3b
	s_mov_b32 s10, 0xbf3bfb3b
	;; [unrolled: 1-line block ×3, first 2 shown]
	v_fmac_f32_e32 v18, 0xbf955555, v21
	v_fma_f32 v21, v27, s9, -v24
	v_fma_f32 v24, v58, s9, -v52
	;; [unrolled: 1-line block ×3, first 2 shown]
	v_fmac_f32_e32 v15, 0x3d64c772, v20
	v_fma_f32 v20, v58, s10, -v23
	v_fmac_f32_e32 v23, 0x3d64c772, v25
	v_fma_f32 v25, v19, s8, -v53
	v_fma_f32 v52, v64, s8, -v59
	;; [unrolled: 1-line block ×3, first 2 shown]
	v_mul_f32_e32 v62, 0xbf5ff5aa, v64
	v_fmac_f32_e32 v53, 0xbeae86e6, v17
	v_add_f32_e32 v64, v23, v18
	v_add_f32_e32 v21, v21, v63
	;; [unrolled: 1-line block ×5, first 2 shown]
	v_fmac_f32_e32 v25, 0xbee1c552, v22
	v_fmac_f32_e32 v52, 0xbee1c552, v14
	;; [unrolled: 1-line block ×3, first 2 shown]
	v_fma_f32 v61, v16, s11, -v62
	v_fmac_f32_e32 v53, 0xbee1c552, v22
	v_sub_f32_e32 v17, v27, v58
	v_sub_f32_e32 v18, v21, v52
	v_add_f32_e32 v19, v25, v23
	v_add_f32_e32 v20, v52, v21
	v_sub_f32_e32 v21, v23, v25
	v_add_f32_e32 v23, v58, v27
	v_add_f32_e32 v27, v56, v60
	;; [unrolled: 1-line block ×3, first 2 shown]
	v_sub_f32_e32 v26, v32, v26
	v_add_f32_e32 v32, v33, v31
	v_fmac_f32_e32 v59, 0xbeae86e6, v16
	v_add_f32_e32 v62, v15, v63
	v_fmac_f32_e32 v61, 0xbee1c552, v14
	v_sub_f32_e32 v15, v64, v53
	v_add_f32_e32 v25, v53, v64
	v_sub_f32_e32 v53, v56, v60
	v_add_f32_e32 v56, v34, v57
	v_sub_f32_e32 v31, v33, v31
	v_sub_f32_e32 v33, v34, v57
	v_add_f32_e32 v34, v35, v29
	v_add_f32_e32 v57, v28, v30
	v_sub_f32_e32 v29, v29, v35
	v_sub_f32_e32 v28, v30, v28
	v_add_f32_e32 v30, v32, v27
	v_fmac_f32_e32 v59, 0xbee1c552, v14
	v_add_f32_e32 v16, v61, v24
	v_sub_f32_e32 v22, v24, v61
	v_add_f32_e32 v35, v56, v52
	v_sub_f32_e32 v58, v32, v27
	v_sub_f32_e32 v60, v27, v34
	v_add_f32_e32 v27, v29, v31
	v_add_f32_e32 v61, v28, v33
	;; [unrolled: 1-line block ×4, first 2 shown]
	v_sub_f32_e32 v24, v62, v59
	v_sub_f32_e32 v32, v34, v32
	;; [unrolled: 1-line block ×8, first 2 shown]
	v_add_f32_e32 v34, v57, v35
	v_add_f32_e32 v35, v27, v53
	;; [unrolled: 1-line block ×4, first 2 shown]
	v_sub_f32_e32 v59, v56, v52
	v_sub_f32_e32 v52, v52, v57
	;; [unrolled: 1-line block ×3, first 2 shown]
	v_add_f32_e32 v27, v55, v34
	v_mov_b32_e32 v64, v26
	v_mul_f32_e32 v54, 0x3f4a47b2, v60
	v_mul_f32_e32 v52, 0x3f4a47b2, v52
	;; [unrolled: 1-line block ×8, first 2 shown]
	v_fmac_f32_e32 v64, 0xbf955555, v30
	v_mov_b32_e32 v30, v27
	v_fmac_f32_e32 v30, 0xbf955555, v34
	v_fma_f32 v34, v58, s9, -v55
	v_fma_f32 v55, v59, s9, -v57
	;; [unrolled: 1-line block ×3, first 2 shown]
	v_fmac_f32_e32 v54, 0x3d64c772, v32
	v_fma_f32 v32, v59, s10, -v52
	v_fmac_f32_e32 v52, 0x3d64c772, v56
	v_fma_f32 v56, v31, s8, -v60
	;; [unrolled: 2-line block ×4, first 2 shown]
	v_fma_f32 v62, v28, s11, -v63
	v_add_f32_e32 v54, v54, v64
	v_add_f32_e32 v63, v52, v30
	;; [unrolled: 1-line block ×6, first 2 shown]
	v_fmac_f32_e32 v60, 0xbee1c552, v35
	v_fmac_f32_e32 v61, 0xbee1c552, v53
	v_fmac_f32_e32 v56, 0xbee1c552, v35
	v_fmac_f32_e32 v58, 0xbee1c552, v53
	v_fmac_f32_e32 v59, 0xbee1c552, v35
	v_fmac_f32_e32 v62, 0xbee1c552, v53
	s_barrier
	ds_write2_b64 v132, v[12:13], v[14:15] offset1:68
	ds_write2_b64 v132, v[16:17], v[18:19] offset0:136 offset1:204
	v_add_u32_e32 v12, 0x800, v132
	v_add_f32_e32 v28, v61, v54
	v_sub_f32_e32 v29, v63, v60
	v_add_f32_e32 v30, v62, v55
	v_sub_f32_e32 v31, v57, v59
	v_sub_f32_e32 v32, v34, v58
	v_add_f32_e32 v33, v56, v52
	v_add_f32_e32 v34, v58, v34
	v_sub_f32_e32 v35, v52, v56
	v_sub_f32_e32 v52, v55, v62
	v_add_f32_e32 v53, v59, v57
	ds_write2_b64 v12, v[20:21], v[22:23] offset0:16 offset1:84
	ds_write_b64 v132, v[24:25] offset:3264
	ds_write2_b64 v224, v[26:27], v[28:29] offset1:68
	ds_write2_b64 v224, v[30:31], v[32:33] offset0:136 offset1:204
	v_add_u32_e32 v12, 0x800, v224
	v_sub_f32_e32 v54, v54, v61
	v_add_f32_e32 v55, v60, v63
	ds_write2_b64 v12, v[34:35], v[52:53] offset0:16 offset1:84
	ds_write_b64 v224, v[54:55] offset:3264
	s_and_saveexec_b64 s[2:3], vcc
	s_cbranch_execz .LBB0_21
; %bb.20:
	v_mul_f32_e32 v12, v1, v83
	v_mul_f32_e32 v13, v11, v223
	;; [unrolled: 1-line block ×4, first 2 shown]
	v_fmac_f32_e32 v12, v0, v82
	v_fmac_f32_e32 v13, v10, v222
	v_mul_f32_e32 v16, v5, v127
	v_fma_f32 v10, v10, v223, -v11
	v_fma_f32 v11, v0, v83, -v1
	v_mul_f32_e32 v0, v5, v126
	v_fmac_f32_e32 v16, v4, v126
	v_fma_f32 v4, v4, v127, -v0
	v_mul_f32_e32 v0, v7, v130
	v_fma_f32 v5, v6, v131, -v0
	v_add_f32_e32 v24, v10, v11
	v_add_f32_e32 v0, v4, v5
	v_mul_f32_e32 v15, v7, v131
	v_sub_f32_e32 v1, v24, v0
	v_fmac_f32_e32 v15, v6, v130
	v_mul_f32_e32 v6, 0x3f4a47b2, v1
	v_mul_f32_e32 v1, v9, v128
	;; [unrolled: 1-line block ×3, first 2 shown]
	v_fma_f32 v7, v8, v129, -v1
	v_mul_f32_e32 v1, v3, v135
	v_fmac_f32_e32 v19, v2, v135
	v_mul_f32_e32 v20, v9, v129
	v_fma_f32 v2, v2, v136, -v1
	v_fmac_f32_e32 v20, v8, v128
	v_add_f32_e32 v8, v7, v2
	v_sub_f32_e32 v1, v0, v8
	v_mov_b32_e32 v3, v6
	v_mul_f32_e32 v9, 0x3d64c772, v1
	v_fmac_f32_e32 v3, 0x3d64c772, v1
	v_add_f32_e32 v1, v8, v24
	v_add_f32_e32 v0, v0, v1
	v_add_f32_e32 v1, v81, v0
	v_mov_b32_e32 v25, v1
	v_sub_f32_e32 v14, v12, v13
	v_fmac_f32_e32 v25, 0xbf955555, v0
	v_add_f32_e32 v12, v13, v12
	v_add_f32_e32 v0, v16, v15
	v_sub_f32_e32 v13, v12, v0
	v_sub_f32_e32 v17, v15, v16
	v_mul_f32_e32 v13, 0x3f4a47b2, v13
	v_add_f32_e32 v15, v20, v19
	v_sub_f32_e32 v21, v19, v20
	v_sub_f32_e32 v16, v0, v15
	v_mov_b32_e32 v20, v13
	v_mul_f32_e32 v19, 0x3d64c772, v16
	v_fmac_f32_e32 v20, 0x3d64c772, v16
	v_add_f32_e32 v16, v15, v12
	v_add_f32_e32 v16, v0, v16
	;; [unrolled: 1-line block ×3, first 2 shown]
	v_sub_f32_e32 v18, v14, v17
	v_sub_f32_e32 v22, v17, v21
	v_add_f32_e32 v17, v17, v21
	v_mov_b32_e32 v27, v0
	v_sub_f32_e32 v4, v5, v4
	v_sub_f32_e32 v7, v2, v7
	v_mul_f32_e32 v22, 0x3f08b237, v22
	v_add_f32_e32 v17, v17, v14
	v_fmac_f32_e32 v27, 0xbf955555, v16
	v_sub_f32_e32 v10, v11, v10
	v_sub_f32_e32 v2, v4, v7
	v_sub_f32_e32 v14, v21, v14
	v_mov_b32_e32 v23, v22
	v_add_f32_e32 v16, v20, v27
	v_sub_f32_e32 v11, v10, v4
	v_mul_f32_e32 v20, 0x3f08b237, v2
	v_add_f32_e32 v2, v4, v7
	v_mul_f32_e32 v4, 0xbf5ff5aa, v14
	v_sub_f32_e32 v8, v8, v24
	v_fmac_f32_e32 v23, 0xbeae86e6, v18
	v_fma_f32 v18, v18, s11, -v4
	v_fma_f32 v4, v8, s10, -v6
	v_sub_f32_e32 v6, v15, v12
	v_add_f32_e32 v29, v2, v10
	v_add_f32_e32 v21, v4, v25
	v_fma_f32 v4, v6, s10, -v13
	v_sub_f32_e32 v10, v7, v10
	v_mov_b32_e32 v28, v20
	v_add_f32_e32 v12, v4, v27
	v_mul_f32_e32 v4, 0xbf5ff5aa, v10
	v_fmac_f32_e32 v28, 0xbeae86e6, v11
	v_fma_f32 v13, v11, s11, -v4
	v_fma_f32 v7, v8, s9, -v9
	;; [unrolled: 1-line block ×5, first 2 shown]
	v_fmac_f32_e32 v23, 0xbee1c552, v17
	v_add_f32_e32 v26, v3, v25
	v_fmac_f32_e32 v28, 0xbee1c552, v29
	v_fmac_f32_e32 v13, 0xbee1c552, v29
	v_add_f32_e32 v8, v7, v25
	v_fmac_f32_e32 v9, 0xbee1c552, v17
	;; [unrolled: 3-line block ×3, first 2 shown]
	v_sub_f32_e32 v4, v12, v13
	v_sub_f32_e32 v7, v8, v9
	v_add_f32_e32 v6, v10, v11
	v_add_f32_e32 v9, v9, v8
	v_sub_f32_e32 v8, v11, v10
	v_add_f32_e32 v10, v13, v12
	v_sub_f32_e32 v13, v26, v23
	v_add_f32_e32 v12, v28, v16
	v_add_u32_e32 v14, 0x2800, v125
	v_sub_f32_e32 v11, v21, v18
	ds_write2_b64 v14, v[0:1], v[12:13] offset0:148 offset1:216
	v_add_u32_e32 v0, 0x3000, v125
	v_add_f32_e32 v3, v23, v26
	v_sub_f32_e32 v2, v16, v28
	v_add_f32_e32 v5, v18, v21
	ds_write2_b64 v0, v[10:11], v[8:9] offset0:28 offset1:96
	ds_write2_b64 v0, v[6:7], v[4:5] offset0:164 offset1:232
	ds_write_b64 v125, v[2:3] offset:14688
.LBB0_21:
	s_or_b64 exec, exec, s[2:3]
	v_add_u32_e32 v32, 0xc00, v149
	s_waitcnt lgkmcnt(0)
	s_barrier
	ds_read2_b64 v[4:7], v32 offset0:92 offset1:211
	v_add_u32_e32 v33, 0x1c00, v149
	ds_read2_b64 v[8:11], v33 offset0:56 offset1:175
	v_add_u32_e32 v34, 0x2c00, v149
	ds_read2_b64 v[12:15], v34 offset0:20 offset1:139
	s_waitcnt lgkmcnt(2)
	v_mul_f32_e32 v55, v37, v5
	v_fmac_f32_e32 v55, v36, v4
	v_mul_f32_e32 v4, v37, v4
	v_fma_f32 v4, v36, v5, -v4
	s_waitcnt lgkmcnt(1)
	v_mul_f32_e32 v5, v39, v9
	v_fmac_f32_e32 v5, v38, v8
	v_mul_f32_e32 v8, v39, v8
	v_add_u32_e32 v52, 0x1400, v149
	v_fma_f32 v8, v38, v9, -v8
	s_waitcnt lgkmcnt(0)
	v_mul_f32_e32 v9, v118, v13
	ds_read2_b64 v[20:23], v52 offset0:74 offset1:193
	v_add_u32_e32 v53, 0x2400, v149
	v_fmac_f32_e32 v9, v117, v12
	v_mul_f32_e32 v12, v118, v12
	ds_read2_b64 v[24:27], v53 offset0:38 offset1:157
	v_add_u32_e32 v54, 0x3000, v149
	v_fma_f32 v12, v117, v13, -v12
	v_mul_f32_e32 v13, v41, v7
	ds_read2_b64 v[28:31], v54 offset0:130 offset1:249
	v_fmac_f32_e32 v13, v40, v6
	v_mul_f32_e32 v6, v41, v6
	v_fma_f32 v36, v40, v7, -v6
	v_mul_f32_e32 v37, v43, v11
	v_mul_f32_e32 v6, v43, v10
	v_fmac_f32_e32 v37, v42, v10
	v_fma_f32 v10, v42, v11, -v6
	v_mul_f32_e32 v11, v120, v15
	v_mul_f32_e32 v6, v120, v14
	ds_read2_b64 v[0:3], v149 offset1:119
	v_fmac_f32_e32 v11, v119, v14
	v_fma_f32 v14, v119, v15, -v6
	s_waitcnt lgkmcnt(3)
	v_mul_f32_e32 v38, v45, v21
	v_mul_f32_e32 v6, v45, v20
	v_fmac_f32_e32 v38, v44, v20
	v_fma_f32 v20, v44, v21, -v6
	s_waitcnt lgkmcnt(2)
	v_mul_f32_e32 v21, v47, v25
	v_mul_f32_e32 v6, v47, v24
	;; [unrolled: 5-line block ×3, first 2 shown]
	v_fmac_f32_e32 v25, v121, v28
	v_fma_f32 v28, v121, v29, -v6
	v_mul_f32_e32 v6, v49, v22
	v_add_u32_e32 v35, 0x400, v149
	v_mul_f32_e32 v29, v49, v23
	v_fma_f32 v39, v48, v23, -v6
	v_mul_f32_e32 v40, v51, v27
	v_mul_f32_e32 v6, v51, v26
	ds_read2_b64 v[16:19], v35 offset0:110 offset1:229
	v_fmac_f32_e32 v29, v48, v22
	v_fmac_f32_e32 v40, v50, v26
	v_fma_f32 v26, v50, v27, -v6
	v_mul_f32_e32 v27, v124, v31
	v_mul_f32_e32 v6, v124, v30
	s_waitcnt lgkmcnt(1)
	v_sub_f32_e32 v15, v0, v5
	v_sub_f32_e32 v22, v1, v8
	;; [unrolled: 1-line block ×4, first 2 shown]
	v_fmac_f32_e32 v27, v123, v30
	v_fma_f32 v30, v123, v31, -v6
	v_fma_f32 v5, v0, 2.0, -v15
	v_fma_f32 v6, v1, 2.0, -v22
	;; [unrolled: 1-line block ×4, first 2 shown]
	v_sub_f32_e32 v7, v22, v7
	v_sub_f32_e32 v0, v5, v0
	;; [unrolled: 1-line block ×3, first 2 shown]
	v_fma_f32 v9, v22, 2.0, -v7
	v_sub_f32_e32 v22, v3, v10
	v_sub_f32_e32 v14, v36, v14
	v_fma_f32 v4, v5, 2.0, -v0
	v_fma_f32 v5, v6, 2.0, -v1
	v_add_f32_e32 v6, v15, v8
	v_fma_f32 v12, v3, 2.0, -v22
	v_fma_f32 v3, v36, 2.0, -v14
	;; [unrolled: 1-line block ×3, first 2 shown]
	v_sub_f32_e32 v15, v2, v37
	v_sub_f32_e32 v23, v13, v11
	;; [unrolled: 1-line block ×3, first 2 shown]
	v_fma_f32 v10, v2, 2.0, -v15
	v_fma_f32 v2, v13, 2.0, -v23
	;; [unrolled: 1-line block ×3, first 2 shown]
	v_add_f32_e32 v12, v15, v14
	v_sub_f32_e32 v13, v22, v23
	s_waitcnt lgkmcnt(0)
	v_sub_f32_e32 v31, v16, v21
	v_sub_f32_e32 v36, v17, v24
	;; [unrolled: 1-line block ×4, first 2 shown]
	v_fma_f32 v14, v15, 2.0, -v12
	v_fma_f32 v15, v22, 2.0, -v13
	;; [unrolled: 1-line block ×6, first 2 shown]
	v_sub_f32_e32 v16, v21, v16
	v_sub_f32_e32 v17, v22, v17
	v_sub_f32_e32 v23, v36, v23
	v_fma_f32 v20, v21, 2.0, -v16
	v_fma_f32 v21, v22, 2.0, -v17
	v_add_f32_e32 v22, v31, v24
	v_fma_f32 v25, v36, 2.0, -v23
	v_sub_f32_e32 v36, v19, v26
	v_sub_f32_e32 v30, v39, v30
	v_fma_f32 v24, v31, 2.0, -v22
	v_sub_f32_e32 v31, v18, v40
	v_fma_f32 v28, v19, 2.0, -v36
	;; [unrolled: 2-line block ×4, first 2 shown]
	v_fma_f32 v18, v29, 2.0, -v37
	v_sub_f32_e32 v19, v28, v19
	s_movk_i32 s2, 0x3000
	v_fma_f32 v10, v10, 2.0, -v2
	v_sub_f32_e32 v18, v26, v18
	v_fma_f32 v27, v28, 2.0, -v19
	v_add_f32_e32 v28, v31, v30
	v_sub_f32_e32 v29, v36, v37
	v_fma_f32 v26, v26, 2.0, -v18
	v_fma_f32 v30, v31, 2.0, -v28
	v_fma_f32 v31, v36, 2.0, -v29
	ds_write2_b64 v149, v[4:5], v[10:11] offset1:119
	ds_write2_b64 v32, v[8:9], v[14:15] offset0:92 offset1:211
	ds_write2_b64 v33, v[0:1], v[2:3] offset0:56 offset1:175
	;; [unrolled: 1-line block ×7, first 2 shown]
	s_waitcnt lgkmcnt(0)
	s_barrier
	s_and_b64 exec, exec, s[0:1]
	s_cbranch_execz .LBB0_23
; %bb.22:
	global_load_dwordx2 v[0:1], v213, s[12:13]
	ds_read_b64 v[4:5], v149
	v_mad_u64_u32 v[2:3], s[0:1], s6, v212, 0
	v_mad_u64_u32 v[6:7], s[0:1], s4, v147, 0
	s_waitcnt lgkmcnt(0)
	v_mad_u64_u32 v[8:9], s[6:7], s7, v212, v[3:4]
	s_mov_b32 s0, 0x1135c811
	s_mov_b32 s1, 0x3f4135c8
	v_mad_u64_u32 v[9:10], s[6:7], s5, v147, v[7:8]
	v_mov_b32_e32 v11, s15
	s_mul_i32 s6, s5, 0x380
	v_mov_b32_e32 v7, v9
	s_mul_hi_u32 s7, s4, 0x380
	s_mul_i32 s3, s4, 0x380
	s_add_i32 s6, s7, s6
	s_movk_i32 s7, 0x1000
	v_mov_b32_e32 v16, s6
	s_movk_i32 s10, 0x2000
	s_waitcnt vmcnt(0)
	v_mul_f32_e32 v3, v5, v1
	v_mul_f32_e32 v1, v4, v1
	v_fmac_f32_e32 v3, v4, v0
	v_fma_f32 v4, v0, v5, -v1
	v_cvt_f64_f32_e32 v[0:1], v3
	v_cvt_f64_f32_e32 v[4:5], v4
	v_mov_b32_e32 v3, v8
	v_mul_f64 v[8:9], v[0:1], s[0:1]
	v_mul_f64 v[4:5], v[4:5], s[0:1]
	v_lshlrev_b64 v[0:1], 3, v[2:3]
	v_lshlrev_b64 v[2:3], 3, v[6:7]
	v_add_co_u32_e32 v0, vcc, s14, v0
	v_addc_co_u32_e32 v1, vcc, v11, v1, vcc
	v_cvt_f32_f64_e32 v6, v[8:9]
	v_cvt_f32_f64_e32 v7, v[4:5]
	v_add_co_u32_e32 v8, vcc, v0, v2
	v_addc_co_u32_e32 v9, vcc, v1, v3, vcc
	global_store_dwordx2 v[8:9], v[6:7], off
	global_load_dwordx2 v[6:7], v213, s[12:13] offset:896
	ds_read2_b64 v[2:5], v213 offset0:112 offset1:224
	s_waitcnt vmcnt(0) lgkmcnt(0)
	v_mul_f32_e32 v10, v3, v7
	v_mul_f32_e32 v7, v2, v7
	v_fmac_f32_e32 v10, v2, v6
	v_fma_f32 v6, v6, v3, -v7
	v_cvt_f64_f32_e32 v[2:3], v10
	v_cvt_f64_f32_e32 v[6:7], v6
	v_mov_b32_e32 v10, s6
	v_mul_f64 v[2:3], v[2:3], s[0:1]
	v_mul_f64 v[6:7], v[6:7], s[0:1]
	v_cvt_f32_f64_e32 v2, v[2:3]
	v_cvt_f32_f64_e32 v3, v[6:7]
	v_add_co_u32_e32 v6, vcc, s3, v8
	v_addc_co_u32_e32 v7, vcc, v9, v10, vcc
	global_store_dwordx2 v[6:7], v[2:3], off
	global_load_dwordx2 v[2:3], v213, s[12:13] offset:1792
	v_add_co_u32_e32 v6, vcc, s3, v6
	s_waitcnt vmcnt(0)
	v_mul_f32_e32 v8, v5, v3
	v_mul_f32_e32 v3, v4, v3
	v_fmac_f32_e32 v8, v4, v2
	v_fma_f32 v4, v2, v5, -v3
	v_cvt_f64_f32_e32 v[2:3], v8
	v_cvt_f64_f32_e32 v[4:5], v4
	v_mov_b32_e32 v8, s6
	v_addc_co_u32_e32 v7, vcc, v7, v8, vcc
	v_mul_f64 v[2:3], v[2:3], s[0:1]
	v_mul_f64 v[4:5], v[4:5], s[0:1]
	v_cvt_f32_f64_e32 v2, v[2:3]
	v_cvt_f32_f64_e32 v3, v[4:5]
	global_store_dwordx2 v[6:7], v[2:3], off
	global_load_dwordx2 v[8:9], v213, s[12:13] offset:2688
	v_add_u32_e32 v2, 0x800, v213
	ds_read2_b64 v[2:5], v2 offset0:80 offset1:192
	v_add_co_u32_e32 v6, vcc, s3, v6
	s_waitcnt vmcnt(0) lgkmcnt(0)
	v_mul_f32_e32 v10, v3, v9
	v_mul_f32_e32 v9, v2, v9
	v_fmac_f32_e32 v10, v2, v8
	v_fma_f32 v8, v8, v3, -v9
	v_cvt_f64_f32_e32 v[2:3], v10
	v_cvt_f64_f32_e32 v[8:9], v8
	v_mov_b32_e32 v10, s6
	v_addc_co_u32_e32 v7, vcc, v7, v10, vcc
	v_mul_f64 v[2:3], v[2:3], s[0:1]
	v_mul_f64 v[8:9], v[8:9], s[0:1]
	v_add_co_u32_e32 v13, vcc, s12, v213
	v_cvt_f32_f64_e32 v2, v[2:3]
	v_cvt_f32_f64_e32 v3, v[8:9]
	global_store_dwordx2 v[6:7], v[2:3], off
	global_load_dwordx2 v[2:3], v213, s[12:13] offset:3584
	s_waitcnt vmcnt(0)
	v_mul_f32_e32 v8, v5, v3
	v_mul_f32_e32 v3, v4, v3
	v_fmac_f32_e32 v8, v4, v2
	v_fma_f32 v4, v2, v5, -v3
	v_cvt_f64_f32_e32 v[2:3], v8
	v_cvt_f64_f32_e32 v[4:5], v4
	v_mov_b32_e32 v8, s13
	v_addc_co_u32_e32 v14, vcc, 0, v8, vcc
	v_mul_f64 v[2:3], v[2:3], s[0:1]
	v_mul_f64 v[4:5], v[4:5], s[0:1]
	v_add_co_u32_e32 v8, vcc, s7, v13
	v_addc_co_u32_e32 v9, vcc, 0, v14, vcc
	v_add_co_u32_e32 v6, vcc, s3, v6
	v_cvt_f32_f64_e32 v2, v[2:3]
	v_cvt_f32_f64_e32 v3, v[4:5]
	v_addc_co_u32_e32 v7, vcc, v7, v10, vcc
	s_mul_i32 s7, s5, 0x700
	global_store_dwordx2 v[6:7], v[2:3], off
	global_load_dwordx2 v[10:11], v[8:9], off offset:384
	v_add_u32_e32 v2, 0x1000, v213
	ds_read2_b64 v[2:5], v2 offset0:48 offset1:160
	v_add_co_u32_e32 v6, vcc, s3, v6
	s_waitcnt vmcnt(0) lgkmcnt(0)
	v_mul_f32_e32 v12, v3, v11
	v_mul_f32_e32 v11, v2, v11
	v_fmac_f32_e32 v12, v2, v10
	v_fma_f32 v10, v10, v3, -v11
	v_cvt_f64_f32_e32 v[2:3], v12
	v_cvt_f64_f32_e32 v[10:11], v10
	v_mov_b32_e32 v12, s6
	v_addc_co_u32_e32 v7, vcc, v7, v12, vcc
	v_mul_f64 v[2:3], v[2:3], s[0:1]
	v_mul_f64 v[10:11], v[10:11], s[0:1]
	v_cvt_f32_f64_e32 v2, v[2:3]
	v_cvt_f32_f64_e32 v3, v[10:11]
	global_store_dwordx2 v[6:7], v[2:3], off
	global_load_dwordx2 v[2:3], v[8:9], off offset:1280
	v_add_co_u32_e32 v6, vcc, s3, v6
	s_waitcnt vmcnt(0)
	v_mul_f32_e32 v10, v5, v3
	v_mul_f32_e32 v3, v4, v3
	v_fmac_f32_e32 v10, v4, v2
	v_fma_f32 v4, v2, v5, -v3
	v_cvt_f64_f32_e32 v[2:3], v10
	v_cvt_f64_f32_e32 v[4:5], v4
	v_mov_b32_e32 v10, s6
	v_addc_co_u32_e32 v7, vcc, v7, v10, vcc
	v_mul_f64 v[2:3], v[2:3], s[0:1]
	v_mul_f64 v[4:5], v[4:5], s[0:1]
	v_cvt_f32_f64_e32 v2, v[2:3]
	v_cvt_f32_f64_e32 v3, v[4:5]
	global_store_dwordx2 v[6:7], v[2:3], off
	global_load_dwordx2 v[10:11], v[8:9], off offset:2176
	v_add_u32_e32 v2, 0x1800, v213
	ds_read2_b64 v[2:5], v2 offset0:16 offset1:128
	v_add_co_u32_e32 v6, vcc, s3, v6
	v_addc_co_u32_e32 v7, vcc, v7, v16, vcc
	s_waitcnt vmcnt(0) lgkmcnt(0)
	v_mul_f32_e32 v12, v3, v11
	v_mul_f32_e32 v11, v2, v11
	v_fmac_f32_e32 v12, v2, v10
	v_fma_f32 v10, v10, v3, -v11
	v_cvt_f64_f32_e32 v[2:3], v12
	v_cvt_f64_f32_e32 v[10:11], v10
	v_or_b32_e32 v12, 0x380, v147
	v_lshlrev_b32_e32 v15, 3, v12
	v_mul_f64 v[2:3], v[2:3], s[0:1]
	v_mul_f64 v[10:11], v[10:11], s[0:1]
	v_cvt_f32_f64_e32 v2, v[2:3]
	v_cvt_f32_f64_e32 v3, v[10:11]
	v_mad_u64_u32 v[10:11], s[8:9], s4, v12, 0
	global_store_dwordx2 v[6:7], v[2:3], off
	global_load_dwordx2 v[2:3], v15, s[12:13]
	v_mad_u64_u32 v[11:12], s[8:9], s5, v12, v[11:12]
	v_lshlrev_b64 v[10:11], 3, v[10:11]
	s_waitcnt vmcnt(0)
	v_mul_f32_e32 v15, v5, v3
	v_mul_f32_e32 v3, v4, v3
	v_fmac_f32_e32 v15, v4, v2
	v_fma_f32 v4, v2, v5, -v3
	v_cvt_f64_f32_e32 v[2:3], v15
	v_cvt_f64_f32_e32 v[4:5], v4
	v_mul_f64 v[2:3], v[2:3], s[0:1]
	v_mul_f64 v[4:5], v[4:5], s[0:1]
	v_cvt_f32_f64_e32 v2, v[2:3]
	v_cvt_f32_f64_e32 v3, v[4:5]
	v_add_co_u32_e32 v4, vcc, v0, v10
	v_addc_co_u32_e32 v5, vcc, v1, v11, vcc
	global_store_dwordx2 v[4:5], v[2:3], off
	global_load_dwordx2 v[8:9], v[8:9], off offset:3968
	v_add_u32_e32 v2, 0x1c00, v213
	ds_read2_b64 v[2:5], v2 offset0:112 offset1:224
	s_waitcnt vmcnt(0) lgkmcnt(0)
	v_mul_f32_e32 v10, v3, v9
	v_mul_f32_e32 v9, v2, v9
	v_fmac_f32_e32 v10, v2, v8
	v_fma_f32 v8, v8, v3, -v9
	v_cvt_f64_f32_e32 v[2:3], v10
	v_cvt_f64_f32_e32 v[8:9], v8
	v_mov_b32_e32 v10, 0x700
	v_mad_u64_u32 v[6:7], s[8:9], s4, v10, v[6:7]
	v_mul_f64 v[2:3], v[2:3], s[0:1]
	v_mul_f64 v[8:9], v[8:9], s[0:1]
	v_add_u32_e32 v7, s7, v7
	v_cvt_f32_f64_e32 v2, v[2:3]
	v_cvt_f32_f64_e32 v3, v[8:9]
	v_add_co_u32_e32 v8, vcc, s10, v13
	v_addc_co_u32_e32 v9, vcc, 0, v14, vcc
	global_store_dwordx2 v[6:7], v[2:3], off
	global_load_dwordx2 v[2:3], v[8:9], off offset:768
	v_add_co_u32_e32 v6, vcc, s3, v6
	s_waitcnt vmcnt(0)
	v_mul_f32_e32 v10, v5, v3
	v_mul_f32_e32 v3, v4, v3
	v_fmac_f32_e32 v10, v4, v2
	v_fma_f32 v4, v2, v5, -v3
	v_cvt_f64_f32_e32 v[2:3], v10
	v_cvt_f64_f32_e32 v[4:5], v4
	v_mov_b32_e32 v10, s6
	v_addc_co_u32_e32 v7, vcc, v7, v10, vcc
	v_mul_f64 v[2:3], v[2:3], s[0:1]
	v_mul_f64 v[4:5], v[4:5], s[0:1]
	v_cvt_f32_f64_e32 v2, v[2:3]
	v_cvt_f32_f64_e32 v3, v[4:5]
	global_store_dwordx2 v[6:7], v[2:3], off
	global_load_dwordx2 v[10:11], v[8:9], off offset:1664
	v_add_u32_e32 v2, 0x2400, v213
	ds_read2_b64 v[2:5], v2 offset0:80 offset1:192
	v_add_co_u32_e32 v6, vcc, s3, v6
	s_waitcnt vmcnt(0) lgkmcnt(0)
	v_mul_f32_e32 v12, v3, v11
	v_mul_f32_e32 v11, v2, v11
	v_fmac_f32_e32 v12, v2, v10
	v_fma_f32 v10, v10, v3, -v11
	v_cvt_f64_f32_e32 v[2:3], v12
	v_cvt_f64_f32_e32 v[10:11], v10
	v_mov_b32_e32 v12, s6
	v_addc_co_u32_e32 v7, vcc, v7, v12, vcc
	v_mul_f64 v[2:3], v[2:3], s[0:1]
	v_mul_f64 v[10:11], v[10:11], s[0:1]
	v_cvt_f32_f64_e32 v2, v[2:3]
	v_cvt_f32_f64_e32 v3, v[10:11]
	global_store_dwordx2 v[6:7], v[2:3], off
	global_load_dwordx2 v[2:3], v[8:9], off offset:2560
	v_add_co_u32_e32 v6, vcc, s3, v6
	s_waitcnt vmcnt(0)
	v_mul_f32_e32 v10, v5, v3
	v_mul_f32_e32 v3, v4, v3
	v_fmac_f32_e32 v10, v4, v2
	v_fma_f32 v4, v2, v5, -v3
	v_cvt_f64_f32_e32 v[2:3], v10
	v_cvt_f64_f32_e32 v[4:5], v4
	v_mov_b32_e32 v10, s6
	v_addc_co_u32_e32 v7, vcc, v7, v10, vcc
	v_mul_f64 v[2:3], v[2:3], s[0:1]
	v_mul_f64 v[4:5], v[4:5], s[0:1]
	v_cvt_f32_f64_e32 v2, v[2:3]
	v_cvt_f32_f64_e32 v3, v[4:5]
	global_store_dwordx2 v[6:7], v[2:3], off
	global_load_dwordx2 v[8:9], v[8:9], off offset:3456
	v_add_u32_e32 v2, 0x2c00, v213
	ds_read2_b64 v[2:5], v2 offset0:48 offset1:160
	s_waitcnt vmcnt(0) lgkmcnt(0)
	v_mul_f32_e32 v10, v3, v9
	v_mul_f32_e32 v9, v2, v9
	v_fmac_f32_e32 v10, v2, v8
	v_fma_f32 v8, v8, v3, -v9
	v_cvt_f64_f32_e32 v[2:3], v10
	v_cvt_f64_f32_e32 v[8:9], v8
	v_add_co_u32_e32 v10, vcc, s2, v13
	v_mul_f64 v[2:3], v[2:3], s[0:1]
	v_mul_f64 v[8:9], v[8:9], s[0:1]
	v_addc_co_u32_e32 v11, vcc, 0, v14, vcc
	v_add_co_u32_e32 v6, vcc, s3, v6
	v_addc_co_u32_e32 v7, vcc, v7, v12, vcc
	v_cvt_f32_f64_e32 v2, v[2:3]
	v_cvt_f32_f64_e32 v3, v[8:9]
	global_store_dwordx2 v[6:7], v[2:3], off
	global_load_dwordx2 v[2:3], v[10:11], off offset:256
	v_add_co_u32_e32 v6, vcc, s3, v6
	s_waitcnt vmcnt(0)
	v_mul_f32_e32 v8, v5, v3
	v_mul_f32_e32 v3, v4, v3
	v_fmac_f32_e32 v8, v4, v2
	v_fma_f32 v4, v2, v5, -v3
	v_cvt_f64_f32_e32 v[2:3], v8
	v_cvt_f64_f32_e32 v[4:5], v4
	v_mov_b32_e32 v8, s6
	v_addc_co_u32_e32 v7, vcc, v7, v8, vcc
	v_mul_f64 v[2:3], v[2:3], s[0:1]
	v_mul_f64 v[4:5], v[4:5], s[0:1]
	v_cvt_f32_f64_e32 v2, v[2:3]
	v_cvt_f32_f64_e32 v3, v[4:5]
	global_store_dwordx2 v[6:7], v[2:3], off
	global_load_dwordx2 v[8:9], v[10:11], off offset:1152
	v_add_u32_e32 v2, 0x3400, v213
	ds_read2_b64 v[2:5], v2 offset0:16 offset1:128
	v_add_co_u32_e32 v6, vcc, s3, v6
	v_addc_co_u32_e32 v7, vcc, v7, v12, vcc
	s_waitcnt vmcnt(0) lgkmcnt(0)
	v_mul_f32_e32 v10, v3, v9
	v_mul_f32_e32 v9, v2, v9
	v_fmac_f32_e32 v10, v2, v8
	v_fma_f32 v8, v8, v3, -v9
	v_cvt_f64_f32_e32 v[2:3], v10
	v_cvt_f64_f32_e32 v[8:9], v8
	v_or_b32_e32 v10, 0x700, v147
	v_lshlrev_b32_e32 v11, 3, v10
	v_mul_f64 v[2:3], v[2:3], s[0:1]
	v_mul_f64 v[8:9], v[8:9], s[0:1]
	v_cvt_f32_f64_e32 v2, v[2:3]
	v_cvt_f32_f64_e32 v3, v[8:9]
	global_store_dwordx2 v[6:7], v[2:3], off
	global_load_dwordx2 v[2:3], v11, s[12:13]
	v_mad_u64_u32 v[6:7], s[2:3], s4, v10, 0
	s_waitcnt vmcnt(0)
	v_mul_f32_e32 v8, v5, v3
	v_mul_f32_e32 v3, v4, v3
	v_fmac_f32_e32 v8, v4, v2
	v_fma_f32 v4, v2, v5, -v3
	v_cvt_f64_f32_e32 v[2:3], v8
	v_cvt_f64_f32_e32 v[4:5], v4
	v_mul_f64 v[2:3], v[2:3], s[0:1]
	v_mul_f64 v[4:5], v[4:5], s[0:1]
	v_mad_u64_u32 v[7:8], s[0:1], s5, v10, v[7:8]
	v_lshlrev_b64 v[6:7], 3, v[6:7]
	v_cvt_f32_f64_e32 v2, v[2:3]
	v_cvt_f32_f64_e32 v3, v[4:5]
	v_add_co_u32_e32 v0, vcc, v0, v6
	v_addc_co_u32_e32 v1, vcc, v1, v7, vcc
	global_store_dwordx2 v[0:1], v[2:3], off
.LBB0_23:
	s_endpgm
	.section	.rodata,"a",@progbits
	.p2align	6, 0x0
	.amdhsa_kernel bluestein_single_back_len1904_dim1_sp_op_CI_CI
		.amdhsa_group_segment_fixed_size 15232
		.amdhsa_private_segment_fixed_size 316
		.amdhsa_kernarg_size 104
		.amdhsa_user_sgpr_count 6
		.amdhsa_user_sgpr_private_segment_buffer 1
		.amdhsa_user_sgpr_dispatch_ptr 0
		.amdhsa_user_sgpr_queue_ptr 0
		.amdhsa_user_sgpr_kernarg_segment_ptr 1
		.amdhsa_user_sgpr_dispatch_id 0
		.amdhsa_user_sgpr_flat_scratch_init 0
		.amdhsa_user_sgpr_private_segment_size 0
		.amdhsa_uses_dynamic_stack 0
		.amdhsa_system_sgpr_private_segment_wavefront_offset 1
		.amdhsa_system_sgpr_workgroup_id_x 1
		.amdhsa_system_sgpr_workgroup_id_y 0
		.amdhsa_system_sgpr_workgroup_id_z 0
		.amdhsa_system_sgpr_workgroup_info 0
		.amdhsa_system_vgpr_workitem_id 0
		.amdhsa_next_free_vgpr 256
		.amdhsa_next_free_sgpr 24
		.amdhsa_reserve_vcc 1
		.amdhsa_reserve_flat_scratch 0
		.amdhsa_float_round_mode_32 0
		.amdhsa_float_round_mode_16_64 0
		.amdhsa_float_denorm_mode_32 3
		.amdhsa_float_denorm_mode_16_64 3
		.amdhsa_dx10_clamp 1
		.amdhsa_ieee_mode 1
		.amdhsa_fp16_overflow 0
		.amdhsa_exception_fp_ieee_invalid_op 0
		.amdhsa_exception_fp_denorm_src 0
		.amdhsa_exception_fp_ieee_div_zero 0
		.amdhsa_exception_fp_ieee_overflow 0
		.amdhsa_exception_fp_ieee_underflow 0
		.amdhsa_exception_fp_ieee_inexact 0
		.amdhsa_exception_int_div_zero 0
	.end_amdhsa_kernel
	.text
.Lfunc_end0:
	.size	bluestein_single_back_len1904_dim1_sp_op_CI_CI, .Lfunc_end0-bluestein_single_back_len1904_dim1_sp_op_CI_CI
                                        ; -- End function
	.section	.AMDGPU.csdata,"",@progbits
; Kernel info:
; codeLenInByte = 24900
; NumSgprs: 28
; NumVgprs: 256
; ScratchSize: 316
; MemoryBound: 0
; FloatMode: 240
; IeeeMode: 1
; LDSByteSize: 15232 bytes/workgroup (compile time only)
; SGPRBlocks: 3
; VGPRBlocks: 63
; NumSGPRsForWavesPerEU: 28
; NumVGPRsForWavesPerEU: 256
; Occupancy: 1
; WaveLimiterHint : 1
; COMPUTE_PGM_RSRC2:SCRATCH_EN: 1
; COMPUTE_PGM_RSRC2:USER_SGPR: 6
; COMPUTE_PGM_RSRC2:TRAP_HANDLER: 0
; COMPUTE_PGM_RSRC2:TGID_X_EN: 1
; COMPUTE_PGM_RSRC2:TGID_Y_EN: 0
; COMPUTE_PGM_RSRC2:TGID_Z_EN: 0
; COMPUTE_PGM_RSRC2:TIDIG_COMP_CNT: 0
	.type	__hip_cuid_6fd6a8cb06d64c33,@object ; @__hip_cuid_6fd6a8cb06d64c33
	.section	.bss,"aw",@nobits
	.globl	__hip_cuid_6fd6a8cb06d64c33
__hip_cuid_6fd6a8cb06d64c33:
	.byte	0                               ; 0x0
	.size	__hip_cuid_6fd6a8cb06d64c33, 1

	.ident	"AMD clang version 19.0.0git (https://github.com/RadeonOpenCompute/llvm-project roc-6.4.0 25133 c7fe45cf4b819c5991fe208aaa96edf142730f1d)"
	.section	".note.GNU-stack","",@progbits
	.addrsig
	.addrsig_sym __hip_cuid_6fd6a8cb06d64c33
	.amdgpu_metadata
---
amdhsa.kernels:
  - .args:
      - .actual_access:  read_only
        .address_space:  global
        .offset:         0
        .size:           8
        .value_kind:     global_buffer
      - .actual_access:  read_only
        .address_space:  global
        .offset:         8
        .size:           8
        .value_kind:     global_buffer
      - .actual_access:  read_only
        .address_space:  global
        .offset:         16
        .size:           8
        .value_kind:     global_buffer
      - .actual_access:  read_only
        .address_space:  global
        .offset:         24
        .size:           8
        .value_kind:     global_buffer
      - .actual_access:  read_only
        .address_space:  global
        .offset:         32
        .size:           8
        .value_kind:     global_buffer
      - .offset:         40
        .size:           8
        .value_kind:     by_value
      - .address_space:  global
        .offset:         48
        .size:           8
        .value_kind:     global_buffer
      - .address_space:  global
        .offset:         56
        .size:           8
        .value_kind:     global_buffer
      - .address_space:  global
        .offset:         64
        .size:           8
        .value_kind:     global_buffer
      - .address_space:  global
        .offset:         72
        .size:           8
        .value_kind:     global_buffer
      - .offset:         80
        .size:           4
        .value_kind:     by_value
      - .address_space:  global
        .offset:         88
        .size:           8
        .value_kind:     global_buffer
      - .address_space:  global
        .offset:         96
        .size:           8
        .value_kind:     global_buffer
    .group_segment_fixed_size: 15232
    .kernarg_segment_align: 8
    .kernarg_segment_size: 104
    .language:       OpenCL C
    .language_version:
      - 2
      - 0
    .max_flat_workgroup_size: 119
    .name:           bluestein_single_back_len1904_dim1_sp_op_CI_CI
    .private_segment_fixed_size: 316
    .sgpr_count:     28
    .sgpr_spill_count: 0
    .symbol:         bluestein_single_back_len1904_dim1_sp_op_CI_CI.kd
    .uniform_work_group_size: 1
    .uses_dynamic_stack: false
    .vgpr_count:     256
    .vgpr_spill_count: 78
    .wavefront_size: 64
amdhsa.target:   amdgcn-amd-amdhsa--gfx906
amdhsa.version:
  - 1
  - 2
...

	.end_amdgpu_metadata
